;; amdgpu-corpus repo=ROCm/rocSPARSE kind=compiled arch=gfx1250 opt=O3
	.amdgcn_target "amdgcn-amd-amdhsa--gfx1250"
	.amdhsa_code_object_version 6
	.section	.text._ZN9rocsparseL11roti_kernelILj512EifEEvT0_PT1_PKS1_S3_NS_24const_host_device_scalarIS2_EES7_21rocsparse_index_base_b,"axG",@progbits,_ZN9rocsparseL11roti_kernelILj512EifEEvT0_PT1_PKS1_S3_NS_24const_host_device_scalarIS2_EES7_21rocsparse_index_base_b,comdat
	.globl	_ZN9rocsparseL11roti_kernelILj512EifEEvT0_PT1_PKS1_S3_NS_24const_host_device_scalarIS2_EES7_21rocsparse_index_base_b ; -- Begin function _ZN9rocsparseL11roti_kernelILj512EifEEvT0_PT1_PKS1_S3_NS_24const_host_device_scalarIS2_EES7_21rocsparse_index_base_b
	.p2align	8
	.type	_ZN9rocsparseL11roti_kernelILj512EifEEvT0_PT1_PKS1_S3_NS_24const_host_device_scalarIS2_EES7_21rocsparse_index_base_b,@function
_ZN9rocsparseL11roti_kernelILj512EifEEvT0_PT1_PKS1_S3_NS_24const_host_device_scalarIS2_EES7_21rocsparse_index_base_b: ; @_ZN9rocsparseL11roti_kernelILj512EifEEvT0_PT1_PKS1_S3_NS_24const_host_device_scalarIS2_EES7_21rocsparse_index_base_b
; %bb.0:
	s_clause 0x1
	s_load_b64 s[2:3], s[0:1], 0x30
	s_load_b128 s[4:7], s[0:1], 0x20
	s_wait_kmcnt 0x0
	s_bitcmp1_b32 s3, 0
	s_cselect_b32 s3, -1, 0
	s_delay_alu instid0(SALU_CYCLE_1)
	s_and_b32 vcc_lo, exec_lo, s3
	s_xor_b32 s3, s3, -1
	s_cbranch_vccnz .LBB0_2
; %bb.1:
	s_load_b32 s4, s[4:5], 0x0
.LBB0_2:
	s_and_not1_b32 vcc_lo, exec_lo, s3
	s_cbranch_vccnz .LBB0_4
; %bb.3:
	s_load_b32 s6, s[6:7], 0x0
.LBB0_4:
	s_wait_kmcnt 0x0
	s_cmp_eq_f32 s4, 1.0
	s_cselect_b32 s3, -1, 0
	s_cmp_eq_f32 s6, 0
	s_cselect_b32 s5, -1, 0
	s_delay_alu instid0(SALU_CYCLE_1) | instskip(NEXT) | instid1(SALU_CYCLE_1)
	s_and_b32 s3, s3, s5
	s_and_b32 vcc_lo, exec_lo, s3
	s_cbranch_vccnz .LBB0_7
; %bb.5:
	s_load_b32 s3, s[0:1], 0x0
	s_bfe_u32 s5, ttmp6, 0x4000c
	s_and_b32 s7, ttmp6, 15
	s_add_co_i32 s5, s5, 1
	s_getreg_b32 s8, hwreg(HW_REG_IB_STS2, 6, 4)
	s_mul_i32 s5, ttmp9, s5
	s_delay_alu instid0(SALU_CYCLE_1) | instskip(SKIP_2) | instid1(SALU_CYCLE_1)
	s_add_co_i32 s7, s7, s5
	s_cmp_eq_u32 s8, 0
	s_cselect_b32 s5, ttmp9, s7
	v_lshl_or_b32 v0, s5, 9, v0
	s_wait_kmcnt 0x0
	s_delay_alu instid0(VALU_DEP_1)
	v_cmp_gt_i32_e32 vcc_lo, s3, v0
	s_and_saveexec_b32 s3, vcc_lo
	s_cbranch_execz .LBB0_7
; %bb.6:
	s_clause 0x1
	s_load_b128 s[8:11], s[0:1], 0x8
	s_load_b64 s[12:13], s[0:1], 0x18
	s_mov_b32 s5, s6
	s_wait_kmcnt 0x0
	s_clause 0x1
	global_load_b32 v1, v0, s[10:11] scale_offset
	global_load_b32 v2, v0, s[8:9] scale_offset
	v_mov_b64_e32 v[4:5], s[4:5]
	s_wait_loadcnt 0x1
	v_subrev_nc_u32_e32 v1, s2, v1
	s_wait_loadcnt 0x0
	v_mov_b32_e32 v7, v2
	global_load_b32 v3, v1, s[12:13] scale_offset
	s_wait_loadcnt 0x0
	v_mov_b32_e32 v6, v3
	v_pk_mul_f32 v[2:3], v[4:5], v[2:3]
	s_delay_alu instid0(VALU_DEP_2) | instskip(NEXT) | instid1(VALU_DEP_1)
	v_pk_mul_f32 v[4:5], v[4:5], v[6:7]
	v_dual_add_f32 v2, v2, v3 :: v_dual_sub_f32 v3, v4, v5
	global_store_b32 v0, v2, s[8:9] scale_offset
	global_store_b32 v1, v3, s[12:13] scale_offset
.LBB0_7:
	s_endpgm
	.section	.rodata,"a",@progbits
	.p2align	6, 0x0
	.amdhsa_kernel _ZN9rocsparseL11roti_kernelILj512EifEEvT0_PT1_PKS1_S3_NS_24const_host_device_scalarIS2_EES7_21rocsparse_index_base_b
		.amdhsa_group_segment_fixed_size 0
		.amdhsa_private_segment_fixed_size 0
		.amdhsa_kernarg_size 56
		.amdhsa_user_sgpr_count 2
		.amdhsa_user_sgpr_dispatch_ptr 0
		.amdhsa_user_sgpr_queue_ptr 0
		.amdhsa_user_sgpr_kernarg_segment_ptr 1
		.amdhsa_user_sgpr_dispatch_id 0
		.amdhsa_user_sgpr_kernarg_preload_length 0
		.amdhsa_user_sgpr_kernarg_preload_offset 0
		.amdhsa_user_sgpr_private_segment_size 0
		.amdhsa_wavefront_size32 1
		.amdhsa_uses_dynamic_stack 0
		.amdhsa_enable_private_segment 0
		.amdhsa_system_sgpr_workgroup_id_x 1
		.amdhsa_system_sgpr_workgroup_id_y 0
		.amdhsa_system_sgpr_workgroup_id_z 0
		.amdhsa_system_sgpr_workgroup_info 0
		.amdhsa_system_vgpr_workitem_id 0
		.amdhsa_next_free_vgpr 8
		.amdhsa_next_free_sgpr 14
		.amdhsa_named_barrier_count 0
		.amdhsa_reserve_vcc 1
		.amdhsa_float_round_mode_32 0
		.amdhsa_float_round_mode_16_64 0
		.amdhsa_float_denorm_mode_32 3
		.amdhsa_float_denorm_mode_16_64 3
		.amdhsa_fp16_overflow 0
		.amdhsa_memory_ordered 1
		.amdhsa_forward_progress 1
		.amdhsa_inst_pref_size 3
		.amdhsa_round_robin_scheduling 0
		.amdhsa_exception_fp_ieee_invalid_op 0
		.amdhsa_exception_fp_denorm_src 0
		.amdhsa_exception_fp_ieee_div_zero 0
		.amdhsa_exception_fp_ieee_overflow 0
		.amdhsa_exception_fp_ieee_underflow 0
		.amdhsa_exception_fp_ieee_inexact 0
		.amdhsa_exception_int_div_zero 0
	.end_amdhsa_kernel
	.section	.text._ZN9rocsparseL11roti_kernelILj512EifEEvT0_PT1_PKS1_S3_NS_24const_host_device_scalarIS2_EES7_21rocsparse_index_base_b,"axG",@progbits,_ZN9rocsparseL11roti_kernelILj512EifEEvT0_PT1_PKS1_S3_NS_24const_host_device_scalarIS2_EES7_21rocsparse_index_base_b,comdat
.Lfunc_end0:
	.size	_ZN9rocsparseL11roti_kernelILj512EifEEvT0_PT1_PKS1_S3_NS_24const_host_device_scalarIS2_EES7_21rocsparse_index_base_b, .Lfunc_end0-_ZN9rocsparseL11roti_kernelILj512EifEEvT0_PT1_PKS1_S3_NS_24const_host_device_scalarIS2_EES7_21rocsparse_index_base_b
                                        ; -- End function
	.set _ZN9rocsparseL11roti_kernelILj512EifEEvT0_PT1_PKS1_S3_NS_24const_host_device_scalarIS2_EES7_21rocsparse_index_base_b.num_vgpr, 8
	.set _ZN9rocsparseL11roti_kernelILj512EifEEvT0_PT1_PKS1_S3_NS_24const_host_device_scalarIS2_EES7_21rocsparse_index_base_b.num_agpr, 0
	.set _ZN9rocsparseL11roti_kernelILj512EifEEvT0_PT1_PKS1_S3_NS_24const_host_device_scalarIS2_EES7_21rocsparse_index_base_b.numbered_sgpr, 14
	.set _ZN9rocsparseL11roti_kernelILj512EifEEvT0_PT1_PKS1_S3_NS_24const_host_device_scalarIS2_EES7_21rocsparse_index_base_b.num_named_barrier, 0
	.set _ZN9rocsparseL11roti_kernelILj512EifEEvT0_PT1_PKS1_S3_NS_24const_host_device_scalarIS2_EES7_21rocsparse_index_base_b.private_seg_size, 0
	.set _ZN9rocsparseL11roti_kernelILj512EifEEvT0_PT1_PKS1_S3_NS_24const_host_device_scalarIS2_EES7_21rocsparse_index_base_b.uses_vcc, 1
	.set _ZN9rocsparseL11roti_kernelILj512EifEEvT0_PT1_PKS1_S3_NS_24const_host_device_scalarIS2_EES7_21rocsparse_index_base_b.uses_flat_scratch, 0
	.set _ZN9rocsparseL11roti_kernelILj512EifEEvT0_PT1_PKS1_S3_NS_24const_host_device_scalarIS2_EES7_21rocsparse_index_base_b.has_dyn_sized_stack, 0
	.set _ZN9rocsparseL11roti_kernelILj512EifEEvT0_PT1_PKS1_S3_NS_24const_host_device_scalarIS2_EES7_21rocsparse_index_base_b.has_recursion, 0
	.set _ZN9rocsparseL11roti_kernelILj512EifEEvT0_PT1_PKS1_S3_NS_24const_host_device_scalarIS2_EES7_21rocsparse_index_base_b.has_indirect_call, 0
	.section	.AMDGPU.csdata,"",@progbits
; Kernel info:
; codeLenInByte = 336
; TotalNumSgprs: 16
; NumVgprs: 8
; ScratchSize: 0
; MemoryBound: 0
; FloatMode: 240
; IeeeMode: 1
; LDSByteSize: 0 bytes/workgroup (compile time only)
; SGPRBlocks: 0
; VGPRBlocks: 0
; NumSGPRsForWavesPerEU: 16
; NumVGPRsForWavesPerEU: 8
; NamedBarCnt: 0
; Occupancy: 16
; WaveLimiterHint : 1
; COMPUTE_PGM_RSRC2:SCRATCH_EN: 0
; COMPUTE_PGM_RSRC2:USER_SGPR: 2
; COMPUTE_PGM_RSRC2:TRAP_HANDLER: 0
; COMPUTE_PGM_RSRC2:TGID_X_EN: 1
; COMPUTE_PGM_RSRC2:TGID_Y_EN: 0
; COMPUTE_PGM_RSRC2:TGID_Z_EN: 0
; COMPUTE_PGM_RSRC2:TIDIG_COMP_CNT: 0
	.section	.text._ZN9rocsparseL11roti_kernelILj512Ei21rocsparse_complex_numIfEEEvT0_PT1_PKS3_S5_NS_24const_host_device_scalarIS4_EES9_21rocsparse_index_base_b,"axG",@progbits,_ZN9rocsparseL11roti_kernelILj512Ei21rocsparse_complex_numIfEEEvT0_PT1_PKS3_S5_NS_24const_host_device_scalarIS4_EES9_21rocsparse_index_base_b,comdat
	.globl	_ZN9rocsparseL11roti_kernelILj512Ei21rocsparse_complex_numIfEEEvT0_PT1_PKS3_S5_NS_24const_host_device_scalarIS4_EES9_21rocsparse_index_base_b ; -- Begin function _ZN9rocsparseL11roti_kernelILj512Ei21rocsparse_complex_numIfEEEvT0_PT1_PKS3_S5_NS_24const_host_device_scalarIS4_EES9_21rocsparse_index_base_b
	.p2align	8
	.type	_ZN9rocsparseL11roti_kernelILj512Ei21rocsparse_complex_numIfEEEvT0_PT1_PKS3_S5_NS_24const_host_device_scalarIS4_EES9_21rocsparse_index_base_b,@function
_ZN9rocsparseL11roti_kernelILj512Ei21rocsparse_complex_numIfEEEvT0_PT1_PKS3_S5_NS_24const_host_device_scalarIS4_EES9_21rocsparse_index_base_b: ; @_ZN9rocsparseL11roti_kernelILj512Ei21rocsparse_complex_numIfEEEvT0_PT1_PKS3_S5_NS_24const_host_device_scalarIS4_EES9_21rocsparse_index_base_b
; %bb.0:
	s_clause 0x1
	s_load_b64 s[6:7], s[0:1], 0x30
	s_load_b128 s[8:11], s[0:1], 0x20
	v_mov_b32_e32 v1, 0
	s_add_nc_u64 s[2:3], s[0:1], 32
	s_add_nc_u64 s[4:5], s[0:1], 40
	s_wait_kmcnt 0x0
	s_bitcmp1_b32 s7, 0
	s_cselect_b32 s3, s3, s9
	s_cselect_b32 s2, s2, s8
	;; [unrolled: 1-line block ×4, first 2 shown]
	s_clause 0x1
	flat_load_b64 v[2:3], v1, s[2:3]
	flat_load_b64 v[4:5], v1, s[4:5]
	s_wait_loadcnt_dscnt 0x101
	v_cmp_eq_f32_e32 vcc_lo, 1.0, v2
	v_cmp_eq_f32_e64 s2, 0, v3
	s_wait_loadcnt_dscnt 0x0
	v_cmp_eq_f32_e64 s3, 0, v4
	v_cmp_eq_f32_e64 s4, 0, v5
	s_and_b32 s2, vcc_lo, s2
	s_and_b32 s3, s3, s4
	s_delay_alu instid0(SALU_CYCLE_1) | instskip(NEXT) | instid1(SALU_CYCLE_1)
	s_and_b32 s2, s2, s3
	s_xor_b32 s2, s2, -1
	s_delay_alu instid0(SALU_CYCLE_1)
	s_and_saveexec_b32 s3, s2
	s_cbranch_execz .LBB1_3
; %bb.1:
	s_load_b32 s2, s[0:1], 0x0
	s_bfe_u32 s3, ttmp6, 0x4000c
	s_and_b32 s4, ttmp6, 15
	s_add_co_i32 s3, s3, 1
	s_getreg_b32 s5, hwreg(HW_REG_IB_STS2, 6, 4)
	s_mul_i32 s3, ttmp9, s3
	s_delay_alu instid0(SALU_CYCLE_1) | instskip(SKIP_2) | instid1(SALU_CYCLE_1)
	s_add_co_i32 s4, s4, s3
	s_cmp_eq_u32 s5, 0
	s_cselect_b32 s3, ttmp9, s4
	v_lshl_or_b32 v0, s3, 9, v0
	s_wait_kmcnt 0x0
	s_delay_alu instid0(VALU_DEP_1)
	v_cmp_gt_i32_e32 vcc_lo, s2, v0
	s_and_b32 exec_lo, exec_lo, vcc_lo
	s_cbranch_execz .LBB1_3
; %bb.2:
	s_clause 0x1
	s_load_b128 s[8:11], s[0:1], 0x8
	s_load_b64 s[2:3], s[0:1], 0x18
	v_xor_b32_e32 v10, 0x80000000, v3
	v_xor_b32_e32 v12, 0x80000000, v5
	v_dual_mov_b32 v11, v2 :: v_dual_mov_b32 v13, v4
	s_wait_kmcnt 0x0
	s_clause 0x1
	global_load_b32 v1, v0, s[10:11] scale_offset
	global_load_b64 v[6:7], v0, s[8:9] scale_offset
	s_wait_loadcnt 0x1
	v_subrev_nc_u32_e32 v1, s6, v1
	s_wait_loadcnt 0x0
	v_pk_mul_f32 v[14:15], v[6:7], v[10:11] op_sel:[1,0]
	v_pk_mul_f32 v[16:17], v[6:7], v[12:13] op_sel:[1,0]
	global_load_b64 v[8:9], v1, s[2:3] scale_offset
	v_pk_fma_f32 v[14:15], v[2:3], v[6:7], v[14:15] op_sel_hi:[1,0,1]
	v_pk_fma_f32 v[6:7], v[4:5], v[6:7], v[16:17] op_sel_hi:[1,0,1]
	s_wait_loadcnt 0x0
	v_pk_mul_f32 v[12:13], v[8:9], v[12:13] op_sel:[1,0]
	v_pk_mul_f32 v[10:11], v[8:9], v[10:11] op_sel:[1,0]
	s_delay_alu instid0(VALU_DEP_2) | instskip(NEXT) | instid1(VALU_DEP_2)
	v_pk_fma_f32 v[4:5], v[4:5], v[8:9], v[12:13] op_sel_hi:[1,0,1]
	v_pk_fma_f32 v[2:3], v[2:3], v[8:9], v[10:11] op_sel_hi:[1,0,1]
	s_delay_alu instid0(VALU_DEP_2) | instskip(NEXT) | instid1(VALU_DEP_2)
	v_pk_add_f32 v[4:5], v[14:15], v[4:5]
	v_pk_add_f32 v[2:3], v[2:3], v[6:7] neg_lo:[0,1] neg_hi:[0,1]
	global_store_b64 v0, v[4:5], s[8:9] scale_offset
	global_store_b64 v1, v[2:3], s[2:3] scale_offset
.LBB1_3:
	s_endpgm
	.section	.rodata,"a",@progbits
	.p2align	6, 0x0
	.amdhsa_kernel _ZN9rocsparseL11roti_kernelILj512Ei21rocsparse_complex_numIfEEEvT0_PT1_PKS3_S5_NS_24const_host_device_scalarIS4_EES9_21rocsparse_index_base_b
		.amdhsa_group_segment_fixed_size 0
		.amdhsa_private_segment_fixed_size 0
		.amdhsa_kernarg_size 56
		.amdhsa_user_sgpr_count 2
		.amdhsa_user_sgpr_dispatch_ptr 0
		.amdhsa_user_sgpr_queue_ptr 0
		.amdhsa_user_sgpr_kernarg_segment_ptr 1
		.amdhsa_user_sgpr_dispatch_id 0
		.amdhsa_user_sgpr_kernarg_preload_length 0
		.amdhsa_user_sgpr_kernarg_preload_offset 0
		.amdhsa_user_sgpr_private_segment_size 0
		.amdhsa_wavefront_size32 1
		.amdhsa_uses_dynamic_stack 0
		.amdhsa_enable_private_segment 0
		.amdhsa_system_sgpr_workgroup_id_x 1
		.amdhsa_system_sgpr_workgroup_id_y 0
		.amdhsa_system_sgpr_workgroup_id_z 0
		.amdhsa_system_sgpr_workgroup_info 0
		.amdhsa_system_vgpr_workitem_id 0
		.amdhsa_next_free_vgpr 18
		.amdhsa_next_free_sgpr 12
		.amdhsa_named_barrier_count 0
		.amdhsa_reserve_vcc 1
		.amdhsa_float_round_mode_32 0
		.amdhsa_float_round_mode_16_64 0
		.amdhsa_float_denorm_mode_32 3
		.amdhsa_float_denorm_mode_16_64 3
		.amdhsa_fp16_overflow 0
		.amdhsa_memory_ordered 1
		.amdhsa_forward_progress 1
		.amdhsa_inst_pref_size 4
		.amdhsa_round_robin_scheduling 0
		.amdhsa_exception_fp_ieee_invalid_op 0
		.amdhsa_exception_fp_denorm_src 0
		.amdhsa_exception_fp_ieee_div_zero 0
		.amdhsa_exception_fp_ieee_overflow 0
		.amdhsa_exception_fp_ieee_underflow 0
		.amdhsa_exception_fp_ieee_inexact 0
		.amdhsa_exception_int_div_zero 0
	.end_amdhsa_kernel
	.section	.text._ZN9rocsparseL11roti_kernelILj512Ei21rocsparse_complex_numIfEEEvT0_PT1_PKS3_S5_NS_24const_host_device_scalarIS4_EES9_21rocsparse_index_base_b,"axG",@progbits,_ZN9rocsparseL11roti_kernelILj512Ei21rocsparse_complex_numIfEEEvT0_PT1_PKS3_S5_NS_24const_host_device_scalarIS4_EES9_21rocsparse_index_base_b,comdat
.Lfunc_end1:
	.size	_ZN9rocsparseL11roti_kernelILj512Ei21rocsparse_complex_numIfEEEvT0_PT1_PKS3_S5_NS_24const_host_device_scalarIS4_EES9_21rocsparse_index_base_b, .Lfunc_end1-_ZN9rocsparseL11roti_kernelILj512Ei21rocsparse_complex_numIfEEEvT0_PT1_PKS3_S5_NS_24const_host_device_scalarIS4_EES9_21rocsparse_index_base_b
                                        ; -- End function
	.set _ZN9rocsparseL11roti_kernelILj512Ei21rocsparse_complex_numIfEEEvT0_PT1_PKS3_S5_NS_24const_host_device_scalarIS4_EES9_21rocsparse_index_base_b.num_vgpr, 18
	.set _ZN9rocsparseL11roti_kernelILj512Ei21rocsparse_complex_numIfEEEvT0_PT1_PKS3_S5_NS_24const_host_device_scalarIS4_EES9_21rocsparse_index_base_b.num_agpr, 0
	.set _ZN9rocsparseL11roti_kernelILj512Ei21rocsparse_complex_numIfEEEvT0_PT1_PKS3_S5_NS_24const_host_device_scalarIS4_EES9_21rocsparse_index_base_b.numbered_sgpr, 12
	.set _ZN9rocsparseL11roti_kernelILj512Ei21rocsparse_complex_numIfEEEvT0_PT1_PKS3_S5_NS_24const_host_device_scalarIS4_EES9_21rocsparse_index_base_b.num_named_barrier, 0
	.set _ZN9rocsparseL11roti_kernelILj512Ei21rocsparse_complex_numIfEEEvT0_PT1_PKS3_S5_NS_24const_host_device_scalarIS4_EES9_21rocsparse_index_base_b.private_seg_size, 0
	.set _ZN9rocsparseL11roti_kernelILj512Ei21rocsparse_complex_numIfEEEvT0_PT1_PKS3_S5_NS_24const_host_device_scalarIS4_EES9_21rocsparse_index_base_b.uses_vcc, 1
	.set _ZN9rocsparseL11roti_kernelILj512Ei21rocsparse_complex_numIfEEEvT0_PT1_PKS3_S5_NS_24const_host_device_scalarIS4_EES9_21rocsparse_index_base_b.uses_flat_scratch, 1
	.set _ZN9rocsparseL11roti_kernelILj512Ei21rocsparse_complex_numIfEEEvT0_PT1_PKS3_S5_NS_24const_host_device_scalarIS4_EES9_21rocsparse_index_base_b.has_dyn_sized_stack, 0
	.set _ZN9rocsparseL11roti_kernelILj512Ei21rocsparse_complex_numIfEEEvT0_PT1_PKS3_S5_NS_24const_host_device_scalarIS4_EES9_21rocsparse_index_base_b.has_recursion, 0
	.set _ZN9rocsparseL11roti_kernelILj512Ei21rocsparse_complex_numIfEEEvT0_PT1_PKS3_S5_NS_24const_host_device_scalarIS4_EES9_21rocsparse_index_base_b.has_indirect_call, 0
	.section	.AMDGPU.csdata,"",@progbits
; Kernel info:
; codeLenInByte = 452
; TotalNumSgprs: 14
; NumVgprs: 18
; ScratchSize: 0
; MemoryBound: 0
; FloatMode: 240
; IeeeMode: 1
; LDSByteSize: 0 bytes/workgroup (compile time only)
; SGPRBlocks: 0
; VGPRBlocks: 1
; NumSGPRsForWavesPerEU: 14
; NumVGPRsForWavesPerEU: 18
; NamedBarCnt: 0
; Occupancy: 16
; WaveLimiterHint : 1
; COMPUTE_PGM_RSRC2:SCRATCH_EN: 0
; COMPUTE_PGM_RSRC2:USER_SGPR: 2
; COMPUTE_PGM_RSRC2:TRAP_HANDLER: 0
; COMPUTE_PGM_RSRC2:TGID_X_EN: 1
; COMPUTE_PGM_RSRC2:TGID_Y_EN: 0
; COMPUTE_PGM_RSRC2:TGID_Z_EN: 0
; COMPUTE_PGM_RSRC2:TIDIG_COMP_CNT: 0
	.section	.text._ZN9rocsparseL11roti_kernelILj512EidEEvT0_PT1_PKS1_S3_NS_24const_host_device_scalarIS2_EES7_21rocsparse_index_base_b,"axG",@progbits,_ZN9rocsparseL11roti_kernelILj512EidEEvT0_PT1_PKS1_S3_NS_24const_host_device_scalarIS2_EES7_21rocsparse_index_base_b,comdat
	.globl	_ZN9rocsparseL11roti_kernelILj512EidEEvT0_PT1_PKS1_S3_NS_24const_host_device_scalarIS2_EES7_21rocsparse_index_base_b ; -- Begin function _ZN9rocsparseL11roti_kernelILj512EidEEvT0_PT1_PKS1_S3_NS_24const_host_device_scalarIS2_EES7_21rocsparse_index_base_b
	.p2align	8
	.type	_ZN9rocsparseL11roti_kernelILj512EidEEvT0_PT1_PKS1_S3_NS_24const_host_device_scalarIS2_EES7_21rocsparse_index_base_b,@function
_ZN9rocsparseL11roti_kernelILj512EidEEvT0_PT1_PKS1_S3_NS_24const_host_device_scalarIS2_EES7_21rocsparse_index_base_b: ; @_ZN9rocsparseL11roti_kernelILj512EidEEvT0_PT1_PKS1_S3_NS_24const_host_device_scalarIS2_EES7_21rocsparse_index_base_b
; %bb.0:
	s_clause 0x1
	s_load_b64 s[8:9], s[0:1], 0x30
	s_load_b128 s[4:7], s[0:1], 0x20
	s_wait_kmcnt 0x0
	s_bitcmp1_b32 s9, 0
	v_mov_b64_e32 v[2:3], s[4:5]
	s_cselect_b32 s2, -1, 0
	s_delay_alu instid0(SALU_CYCLE_1)
	s_and_b32 vcc_lo, exec_lo, s2
	s_xor_b32 s2, s2, -1
	s_cbranch_vccnz .LBB2_2
; %bb.1:
	v_mov_b32_e32 v1, 0
	flat_load_b64 v[2:3], v1, s[4:5]
.LBB2_2:
	v_mov_b64_e32 v[4:5], s[6:7]
	s_and_not1_b32 vcc_lo, exec_lo, s2
	s_cbranch_vccnz .LBB2_4
; %bb.3:
	s_wait_xcnt 0x0
	v_mov_b32_e32 v1, 0
	flat_load_b64 v[4:5], v1, s[6:7]
.LBB2_4:
	s_wait_loadcnt_dscnt 0x0
	v_cmp_neq_f64_e32 vcc_lo, 1.0, v[2:3]
	s_delay_alu instid0(VALU_DEP_2) | instskip(SKIP_1) | instid1(SALU_CYCLE_1)
	v_cmp_neq_f64_e64 s2, 0, v[4:5]
	s_or_b32 s2, vcc_lo, s2
	s_and_saveexec_b32 s3, s2
	s_cbranch_execz .LBB2_7
; %bb.5:
	s_load_b32 s2, s[0:1], 0x0
	s_bfe_u32 s3, ttmp6, 0x4000c
	s_and_b32 s4, ttmp6, 15
	s_add_co_i32 s3, s3, 1
	s_getreg_b32 s5, hwreg(HW_REG_IB_STS2, 6, 4)
	s_mul_i32 s3, ttmp9, s3
	s_delay_alu instid0(SALU_CYCLE_1) | instskip(SKIP_2) | instid1(SALU_CYCLE_1)
	s_add_co_i32 s4, s4, s3
	s_cmp_eq_u32 s5, 0
	s_cselect_b32 s3, ttmp9, s4
	v_lshl_or_b32 v0, s3, 9, v0
	s_wait_kmcnt 0x0
	s_delay_alu instid0(VALU_DEP_1)
	v_cmp_gt_i32_e32 vcc_lo, s2, v0
	s_and_b32 exec_lo, exec_lo, vcc_lo
	s_cbranch_execz .LBB2_7
; %bb.6:
	s_clause 0x1
	s_load_b128 s[4:7], s[0:1], 0x8
	s_load_b64 s[2:3], s[0:1], 0x18
	s_wait_kmcnt 0x0
	s_clause 0x1
	global_load_b32 v1, v0, s[6:7] scale_offset
	global_load_b64 v[6:7], v0, s[4:5] scale_offset
	s_wait_loadcnt 0x1
	v_subrev_nc_u32_e32 v1, s8, v1
	global_load_b64 v[8:9], v1, s[2:3] scale_offset
	s_wait_loadcnt 0x0
	v_mul_f64_e32 v[10:11], v[4:5], v[8:9]
	v_mul_f64_e32 v[4:5], v[4:5], v[6:7]
	s_delay_alu instid0(VALU_DEP_2) | instskip(NEXT) | instid1(VALU_DEP_2)
	v_fmac_f64_e32 v[10:11], v[2:3], v[6:7]
	v_fma_f64 v[2:3], v[2:3], v[8:9], -v[4:5]
	global_store_b64 v0, v[10:11], s[4:5] scale_offset
	global_store_b64 v1, v[2:3], s[2:3] scale_offset
.LBB2_7:
	s_endpgm
	.section	.rodata,"a",@progbits
	.p2align	6, 0x0
	.amdhsa_kernel _ZN9rocsparseL11roti_kernelILj512EidEEvT0_PT1_PKS1_S3_NS_24const_host_device_scalarIS2_EES7_21rocsparse_index_base_b
		.amdhsa_group_segment_fixed_size 0
		.amdhsa_private_segment_fixed_size 0
		.amdhsa_kernarg_size 56
		.amdhsa_user_sgpr_count 2
		.amdhsa_user_sgpr_dispatch_ptr 0
		.amdhsa_user_sgpr_queue_ptr 0
		.amdhsa_user_sgpr_kernarg_segment_ptr 1
		.amdhsa_user_sgpr_dispatch_id 0
		.amdhsa_user_sgpr_kernarg_preload_length 0
		.amdhsa_user_sgpr_kernarg_preload_offset 0
		.amdhsa_user_sgpr_private_segment_size 0
		.amdhsa_wavefront_size32 1
		.amdhsa_uses_dynamic_stack 0
		.amdhsa_enable_private_segment 0
		.amdhsa_system_sgpr_workgroup_id_x 1
		.amdhsa_system_sgpr_workgroup_id_y 0
		.amdhsa_system_sgpr_workgroup_id_z 0
		.amdhsa_system_sgpr_workgroup_info 0
		.amdhsa_system_vgpr_workitem_id 0
		.amdhsa_next_free_vgpr 12
		.amdhsa_next_free_sgpr 10
		.amdhsa_named_barrier_count 0
		.amdhsa_reserve_vcc 1
		.amdhsa_float_round_mode_32 0
		.amdhsa_float_round_mode_16_64 0
		.amdhsa_float_denorm_mode_32 3
		.amdhsa_float_denorm_mode_16_64 3
		.amdhsa_fp16_overflow 0
		.amdhsa_memory_ordered 1
		.amdhsa_forward_progress 1
		.amdhsa_inst_pref_size 3
		.amdhsa_round_robin_scheduling 0
		.amdhsa_exception_fp_ieee_invalid_op 0
		.amdhsa_exception_fp_denorm_src 0
		.amdhsa_exception_fp_ieee_div_zero 0
		.amdhsa_exception_fp_ieee_overflow 0
		.amdhsa_exception_fp_ieee_underflow 0
		.amdhsa_exception_fp_ieee_inexact 0
		.amdhsa_exception_int_div_zero 0
	.end_amdhsa_kernel
	.section	.text._ZN9rocsparseL11roti_kernelILj512EidEEvT0_PT1_PKS1_S3_NS_24const_host_device_scalarIS2_EES7_21rocsparse_index_base_b,"axG",@progbits,_ZN9rocsparseL11roti_kernelILj512EidEEvT0_PT1_PKS1_S3_NS_24const_host_device_scalarIS2_EES7_21rocsparse_index_base_b,comdat
.Lfunc_end2:
	.size	_ZN9rocsparseL11roti_kernelILj512EidEEvT0_PT1_PKS1_S3_NS_24const_host_device_scalarIS2_EES7_21rocsparse_index_base_b, .Lfunc_end2-_ZN9rocsparseL11roti_kernelILj512EidEEvT0_PT1_PKS1_S3_NS_24const_host_device_scalarIS2_EES7_21rocsparse_index_base_b
                                        ; -- End function
	.set _ZN9rocsparseL11roti_kernelILj512EidEEvT0_PT1_PKS1_S3_NS_24const_host_device_scalarIS2_EES7_21rocsparse_index_base_b.num_vgpr, 12
	.set _ZN9rocsparseL11roti_kernelILj512EidEEvT0_PT1_PKS1_S3_NS_24const_host_device_scalarIS2_EES7_21rocsparse_index_base_b.num_agpr, 0
	.set _ZN9rocsparseL11roti_kernelILj512EidEEvT0_PT1_PKS1_S3_NS_24const_host_device_scalarIS2_EES7_21rocsparse_index_base_b.numbered_sgpr, 10
	.set _ZN9rocsparseL11roti_kernelILj512EidEEvT0_PT1_PKS1_S3_NS_24const_host_device_scalarIS2_EES7_21rocsparse_index_base_b.num_named_barrier, 0
	.set _ZN9rocsparseL11roti_kernelILj512EidEEvT0_PT1_PKS1_S3_NS_24const_host_device_scalarIS2_EES7_21rocsparse_index_base_b.private_seg_size, 0
	.set _ZN9rocsparseL11roti_kernelILj512EidEEvT0_PT1_PKS1_S3_NS_24const_host_device_scalarIS2_EES7_21rocsparse_index_base_b.uses_vcc, 1
	.set _ZN9rocsparseL11roti_kernelILj512EidEEvT0_PT1_PKS1_S3_NS_24const_host_device_scalarIS2_EES7_21rocsparse_index_base_b.uses_flat_scratch, 0
	.set _ZN9rocsparseL11roti_kernelILj512EidEEvT0_PT1_PKS1_S3_NS_24const_host_device_scalarIS2_EES7_21rocsparse_index_base_b.has_dyn_sized_stack, 0
	.set _ZN9rocsparseL11roti_kernelILj512EidEEvT0_PT1_PKS1_S3_NS_24const_host_device_scalarIS2_EES7_21rocsparse_index_base_b.has_recursion, 0
	.set _ZN9rocsparseL11roti_kernelILj512EidEEvT0_PT1_PKS1_S3_NS_24const_host_device_scalarIS2_EES7_21rocsparse_index_base_b.has_indirect_call, 0
	.section	.AMDGPU.csdata,"",@progbits
; Kernel info:
; codeLenInByte = 336
; TotalNumSgprs: 12
; NumVgprs: 12
; ScratchSize: 0
; MemoryBound: 0
; FloatMode: 240
; IeeeMode: 1
; LDSByteSize: 0 bytes/workgroup (compile time only)
; SGPRBlocks: 0
; VGPRBlocks: 0
; NumSGPRsForWavesPerEU: 12
; NumVGPRsForWavesPerEU: 12
; NamedBarCnt: 0
; Occupancy: 16
; WaveLimiterHint : 1
; COMPUTE_PGM_RSRC2:SCRATCH_EN: 0
; COMPUTE_PGM_RSRC2:USER_SGPR: 2
; COMPUTE_PGM_RSRC2:TRAP_HANDLER: 0
; COMPUTE_PGM_RSRC2:TGID_X_EN: 1
; COMPUTE_PGM_RSRC2:TGID_Y_EN: 0
; COMPUTE_PGM_RSRC2:TGID_Z_EN: 0
; COMPUTE_PGM_RSRC2:TIDIG_COMP_CNT: 0
	.section	.text._ZN9rocsparseL11roti_kernelILj512Ei21rocsparse_complex_numIdEEEvT0_PT1_PKS3_S5_NS_24const_host_device_scalarIS4_EES9_21rocsparse_index_base_b,"axG",@progbits,_ZN9rocsparseL11roti_kernelILj512Ei21rocsparse_complex_numIdEEEvT0_PT1_PKS3_S5_NS_24const_host_device_scalarIS4_EES9_21rocsparse_index_base_b,comdat
	.globl	_ZN9rocsparseL11roti_kernelILj512Ei21rocsparse_complex_numIdEEEvT0_PT1_PKS3_S5_NS_24const_host_device_scalarIS4_EES9_21rocsparse_index_base_b ; -- Begin function _ZN9rocsparseL11roti_kernelILj512Ei21rocsparse_complex_numIdEEEvT0_PT1_PKS3_S5_NS_24const_host_device_scalarIS4_EES9_21rocsparse_index_base_b
	.p2align	8
	.type	_ZN9rocsparseL11roti_kernelILj512Ei21rocsparse_complex_numIdEEEvT0_PT1_PKS3_S5_NS_24const_host_device_scalarIS4_EES9_21rocsparse_index_base_b,@function
_ZN9rocsparseL11roti_kernelILj512Ei21rocsparse_complex_numIdEEEvT0_PT1_PKS3_S5_NS_24const_host_device_scalarIS4_EES9_21rocsparse_index_base_b: ; @_ZN9rocsparseL11roti_kernelILj512Ei21rocsparse_complex_numIdEEEvT0_PT1_PKS3_S5_NS_24const_host_device_scalarIS4_EES9_21rocsparse_index_base_b
; %bb.0:
	s_clause 0x1
	s_load_b64 s[8:9], s[0:1], 0x40
	s_load_b64 s[2:3], s[0:1], 0x20
	v_mov_b32_e32 v1, 0
	s_add_nc_u64 s[4:5], s[0:1], 32
	s_load_b64 s[6:7], s[0:1], 0x30
	s_wait_kmcnt 0x0
	s_bitcmp1_b32 s9, 0
	s_cselect_b32 s3, s5, s3
	s_cselect_b32 s2, s4, s2
	flat_load_b128 v[2:5], v1, s[2:3]
	s_wait_xcnt 0x0
	s_add_nc_u64 s[2:3], s[0:1], 48
	s_delay_alu instid0(SALU_CYCLE_1)
	s_cselect_b32 s3, s3, s7
	s_cselect_b32 s2, s2, s6
	flat_load_b128 v[6:9], v1, s[2:3]
	s_wait_loadcnt_dscnt 0x101
	v_cmp_eq_f64_e32 vcc_lo, 1.0, v[2:3]
	s_wait_xcnt 0x0
	v_cmp_eq_f64_e64 s2, 0, v[4:5]
	s_and_b32 s4, vcc_lo, s2
	s_mov_b32 s2, -1
	s_and_saveexec_b32 s3, s4
	s_cbranch_execz .LBB3_2
; %bb.1:
	s_wait_loadcnt_dscnt 0x0
	v_cmp_neq_f64_e32 vcc_lo, 0, v[6:7]
	v_cmp_neq_f64_e64 s2, 0, v[8:9]
	s_or_b32 s2, vcc_lo, s2
	s_delay_alu instid0(SALU_CYCLE_1)
	s_or_not1_b32 s2, s2, exec_lo
.LBB3_2:
	s_or_b32 exec_lo, exec_lo, s3
	s_and_saveexec_b32 s3, s2
	s_cbranch_execz .LBB3_5
; %bb.3:
	s_load_b32 s2, s[0:1], 0x0
	s_bfe_u32 s3, ttmp6, 0x4000c
	s_and_b32 s4, ttmp6, 15
	s_add_co_i32 s3, s3, 1
	s_getreg_b32 s5, hwreg(HW_REG_IB_STS2, 6, 4)
	s_mul_i32 s3, ttmp9, s3
	s_delay_alu instid0(SALU_CYCLE_1) | instskip(SKIP_2) | instid1(SALU_CYCLE_1)
	s_add_co_i32 s4, s4, s3
	s_cmp_eq_u32 s5, 0
	s_cselect_b32 s3, ttmp9, s4
	v_lshl_or_b32 v0, s3, 9, v0
	s_wait_kmcnt 0x0
	s_delay_alu instid0(VALU_DEP_1)
	v_cmp_gt_i32_e32 vcc_lo, s2, v0
	s_and_b32 exec_lo, exec_lo, vcc_lo
	s_cbranch_execz .LBB3_5
; %bb.4:
	s_clause 0x1
	s_load_b128 s[4:7], s[0:1], 0x8
	s_load_b64 s[2:3], s[0:1], 0x18
	s_wait_kmcnt 0x0
	s_clause 0x1
	global_load_b32 v1, v0, s[6:7] scale_offset
	global_load_b128 v[10:13], v0, s[4:5] scale_offset
	s_wait_loadcnt 0x1
	v_subrev_nc_u32_e32 v1, s8, v1
	s_wait_loadcnt 0x0
	v_mul_f64_e64 v[18:19], v[12:13], -v[4:5]
	v_mul_f64_e32 v[20:21], v[2:3], v[12:13]
	s_wait_dscnt 0x0
	v_mul_f64_e64 v[22:23], v[12:13], -v[8:9]
	v_mul_f64_e32 v[12:13], v[6:7], v[12:13]
	global_load_b128 v[14:17], v1, s[2:3] scale_offset
	v_fmac_f64_e32 v[18:19], v[2:3], v[10:11]
	v_fmac_f64_e32 v[20:21], v[4:5], v[10:11]
	;; [unrolled: 1-line block ×4, first 2 shown]
	s_wait_loadcnt 0x0
	v_mul_f64_e64 v[24:25], v[16:17], -v[8:9]
	v_mul_f64_e32 v[26:27], v[6:7], v[16:17]
	v_mul_f64_e64 v[28:29], v[16:17], -v[4:5]
	v_mul_f64_e32 v[16:17], v[2:3], v[16:17]
	s_delay_alu instid0(VALU_DEP_4) | instskip(NEXT) | instid1(VALU_DEP_4)
	v_fmac_f64_e32 v[24:25], v[6:7], v[14:15]
	v_fmac_f64_e32 v[26:27], v[8:9], v[14:15]
	s_delay_alu instid0(VALU_DEP_4) | instskip(NEXT) | instid1(VALU_DEP_4)
	v_fmac_f64_e32 v[28:29], v[2:3], v[14:15]
	v_fmac_f64_e32 v[16:17], v[4:5], v[14:15]
	s_delay_alu instid0(VALU_DEP_4) | instskip(NEXT) | instid1(VALU_DEP_4)
	v_add_f64_e32 v[2:3], v[18:19], v[24:25]
	v_add_f64_e32 v[4:5], v[20:21], v[26:27]
	s_delay_alu instid0(VALU_DEP_4) | instskip(NEXT) | instid1(VALU_DEP_4)
	v_add_f64_e64 v[6:7], v[28:29], -v[22:23]
	v_add_f64_e64 v[8:9], v[16:17], -v[12:13]
	global_store_b128 v0, v[2:5], s[4:5] scale_offset
	global_store_b128 v1, v[6:9], s[2:3] scale_offset
.LBB3_5:
	s_endpgm
	.section	.rodata,"a",@progbits
	.p2align	6, 0x0
	.amdhsa_kernel _ZN9rocsparseL11roti_kernelILj512Ei21rocsparse_complex_numIdEEEvT0_PT1_PKS3_S5_NS_24const_host_device_scalarIS4_EES9_21rocsparse_index_base_b
		.amdhsa_group_segment_fixed_size 0
		.amdhsa_private_segment_fixed_size 0
		.amdhsa_kernarg_size 72
		.amdhsa_user_sgpr_count 2
		.amdhsa_user_sgpr_dispatch_ptr 0
		.amdhsa_user_sgpr_queue_ptr 0
		.amdhsa_user_sgpr_kernarg_segment_ptr 1
		.amdhsa_user_sgpr_dispatch_id 0
		.amdhsa_user_sgpr_kernarg_preload_length 0
		.amdhsa_user_sgpr_kernarg_preload_offset 0
		.amdhsa_user_sgpr_private_segment_size 0
		.amdhsa_wavefront_size32 1
		.amdhsa_uses_dynamic_stack 0
		.amdhsa_enable_private_segment 0
		.amdhsa_system_sgpr_workgroup_id_x 1
		.amdhsa_system_sgpr_workgroup_id_y 0
		.amdhsa_system_sgpr_workgroup_id_z 0
		.amdhsa_system_sgpr_workgroup_info 0
		.amdhsa_system_vgpr_workitem_id 0
		.amdhsa_next_free_vgpr 30
		.amdhsa_next_free_sgpr 10
		.amdhsa_named_barrier_count 0
		.amdhsa_reserve_vcc 1
		.amdhsa_float_round_mode_32 0
		.amdhsa_float_round_mode_16_64 0
		.amdhsa_float_denorm_mode_32 3
		.amdhsa_float_denorm_mode_16_64 3
		.amdhsa_fp16_overflow 0
		.amdhsa_memory_ordered 1
		.amdhsa_forward_progress 1
		.amdhsa_inst_pref_size 4
		.amdhsa_round_robin_scheduling 0
		.amdhsa_exception_fp_ieee_invalid_op 0
		.amdhsa_exception_fp_denorm_src 0
		.amdhsa_exception_fp_ieee_div_zero 0
		.amdhsa_exception_fp_ieee_overflow 0
		.amdhsa_exception_fp_ieee_underflow 0
		.amdhsa_exception_fp_ieee_inexact 0
		.amdhsa_exception_int_div_zero 0
	.end_amdhsa_kernel
	.section	.text._ZN9rocsparseL11roti_kernelILj512Ei21rocsparse_complex_numIdEEEvT0_PT1_PKS3_S5_NS_24const_host_device_scalarIS4_EES9_21rocsparse_index_base_b,"axG",@progbits,_ZN9rocsparseL11roti_kernelILj512Ei21rocsparse_complex_numIdEEEvT0_PT1_PKS3_S5_NS_24const_host_device_scalarIS4_EES9_21rocsparse_index_base_b,comdat
.Lfunc_end3:
	.size	_ZN9rocsparseL11roti_kernelILj512Ei21rocsparse_complex_numIdEEEvT0_PT1_PKS3_S5_NS_24const_host_device_scalarIS4_EES9_21rocsparse_index_base_b, .Lfunc_end3-_ZN9rocsparseL11roti_kernelILj512Ei21rocsparse_complex_numIdEEEvT0_PT1_PKS3_S5_NS_24const_host_device_scalarIS4_EES9_21rocsparse_index_base_b
                                        ; -- End function
	.set _ZN9rocsparseL11roti_kernelILj512Ei21rocsparse_complex_numIdEEEvT0_PT1_PKS3_S5_NS_24const_host_device_scalarIS4_EES9_21rocsparse_index_base_b.num_vgpr, 30
	.set _ZN9rocsparseL11roti_kernelILj512Ei21rocsparse_complex_numIdEEEvT0_PT1_PKS3_S5_NS_24const_host_device_scalarIS4_EES9_21rocsparse_index_base_b.num_agpr, 0
	.set _ZN9rocsparseL11roti_kernelILj512Ei21rocsparse_complex_numIdEEEvT0_PT1_PKS3_S5_NS_24const_host_device_scalarIS4_EES9_21rocsparse_index_base_b.numbered_sgpr, 10
	.set _ZN9rocsparseL11roti_kernelILj512Ei21rocsparse_complex_numIdEEEvT0_PT1_PKS3_S5_NS_24const_host_device_scalarIS4_EES9_21rocsparse_index_base_b.num_named_barrier, 0
	.set _ZN9rocsparseL11roti_kernelILj512Ei21rocsparse_complex_numIdEEEvT0_PT1_PKS3_S5_NS_24const_host_device_scalarIS4_EES9_21rocsparse_index_base_b.private_seg_size, 0
	.set _ZN9rocsparseL11roti_kernelILj512Ei21rocsparse_complex_numIdEEEvT0_PT1_PKS3_S5_NS_24const_host_device_scalarIS4_EES9_21rocsparse_index_base_b.uses_vcc, 1
	.set _ZN9rocsparseL11roti_kernelILj512Ei21rocsparse_complex_numIdEEEvT0_PT1_PKS3_S5_NS_24const_host_device_scalarIS4_EES9_21rocsparse_index_base_b.uses_flat_scratch, 0
	.set _ZN9rocsparseL11roti_kernelILj512Ei21rocsparse_complex_numIdEEEvT0_PT1_PKS3_S5_NS_24const_host_device_scalarIS4_EES9_21rocsparse_index_base_b.has_dyn_sized_stack, 0
	.set _ZN9rocsparseL11roti_kernelILj512Ei21rocsparse_complex_numIdEEEvT0_PT1_PKS3_S5_NS_24const_host_device_scalarIS4_EES9_21rocsparse_index_base_b.has_recursion, 0
	.set _ZN9rocsparseL11roti_kernelILj512Ei21rocsparse_complex_numIdEEEvT0_PT1_PKS3_S5_NS_24const_host_device_scalarIS4_EES9_21rocsparse_index_base_b.has_indirect_call, 0
	.section	.AMDGPU.csdata,"",@progbits
; Kernel info:
; codeLenInByte = 480
; TotalNumSgprs: 12
; NumVgprs: 30
; ScratchSize: 0
; MemoryBound: 0
; FloatMode: 240
; IeeeMode: 1
; LDSByteSize: 0 bytes/workgroup (compile time only)
; SGPRBlocks: 0
; VGPRBlocks: 1
; NumSGPRsForWavesPerEU: 12
; NumVGPRsForWavesPerEU: 30
; NamedBarCnt: 0
; Occupancy: 16
; WaveLimiterHint : 1
; COMPUTE_PGM_RSRC2:SCRATCH_EN: 0
; COMPUTE_PGM_RSRC2:USER_SGPR: 2
; COMPUTE_PGM_RSRC2:TRAP_HANDLER: 0
; COMPUTE_PGM_RSRC2:TGID_X_EN: 1
; COMPUTE_PGM_RSRC2:TGID_Y_EN: 0
; COMPUTE_PGM_RSRC2:TGID_Z_EN: 0
; COMPUTE_PGM_RSRC2:TIDIG_COMP_CNT: 0
	.section	.text._ZN9rocsparseL11roti_kernelILj512ElfEEvT0_PT1_PKS1_S3_NS_24const_host_device_scalarIS2_EES7_21rocsparse_index_base_b,"axG",@progbits,_ZN9rocsparseL11roti_kernelILj512ElfEEvT0_PT1_PKS1_S3_NS_24const_host_device_scalarIS2_EES7_21rocsparse_index_base_b,comdat
	.globl	_ZN9rocsparseL11roti_kernelILj512ElfEEvT0_PT1_PKS1_S3_NS_24const_host_device_scalarIS2_EES7_21rocsparse_index_base_b ; -- Begin function _ZN9rocsparseL11roti_kernelILj512ElfEEvT0_PT1_PKS1_S3_NS_24const_host_device_scalarIS2_EES7_21rocsparse_index_base_b
	.p2align	8
	.type	_ZN9rocsparseL11roti_kernelILj512ElfEEvT0_PT1_PKS1_S3_NS_24const_host_device_scalarIS2_EES7_21rocsparse_index_base_b,@function
_ZN9rocsparseL11roti_kernelILj512ElfEEvT0_PT1_PKS1_S3_NS_24const_host_device_scalarIS2_EES7_21rocsparse_index_base_b: ; @_ZN9rocsparseL11roti_kernelILj512ElfEEvT0_PT1_PKS1_S3_NS_24const_host_device_scalarIS2_EES7_21rocsparse_index_base_b
; %bb.0:
	s_clause 0x1
	s_load_b64 s[2:3], s[0:1], 0x30
	s_load_b128 s[4:7], s[0:1], 0x20
	s_wait_kmcnt 0x0
	s_bitcmp1_b32 s3, 0
	s_cselect_b32 s3, -1, 0
	s_delay_alu instid0(SALU_CYCLE_1)
	s_and_b32 vcc_lo, exec_lo, s3
	s_xor_b32 s3, s3, -1
	s_cbranch_vccnz .LBB4_2
; %bb.1:
	s_load_b32 s4, s[4:5], 0x0
.LBB4_2:
	s_and_not1_b32 vcc_lo, exec_lo, s3
	s_cbranch_vccnz .LBB4_4
; %bb.3:
	s_load_b32 s6, s[6:7], 0x0
.LBB4_4:
	s_wait_kmcnt 0x0
	s_cmp_eq_f32 s4, 1.0
	s_cselect_b32 s3, -1, 0
	s_cmp_eq_f32 s6, 0
	s_cselect_b32 s5, -1, 0
	s_delay_alu instid0(SALU_CYCLE_1) | instskip(NEXT) | instid1(SALU_CYCLE_1)
	s_and_b32 s3, s3, s5
	s_and_b32 vcc_lo, exec_lo, s3
	s_cbranch_vccnz .LBB4_7
; %bb.5:
	s_load_b64 s[8:9], s[0:1], 0x0
	s_bfe_u32 s3, ttmp6, 0x4000c
	s_and_b32 s5, ttmp6, 15
	s_add_co_i32 s3, s3, 1
	s_getreg_b32 s7, hwreg(HW_REG_IB_STS2, 6, 4)
	s_mul_i32 s3, ttmp9, s3
	v_mov_b32_e32 v1, 0
	s_add_co_i32 s5, s5, s3
	s_cmp_eq_u32 s7, 0
	s_cselect_b32 s3, ttmp9, s5
	s_delay_alu instid0(SALU_CYCLE_1) | instskip(SKIP_2) | instid1(VALU_DEP_1)
	v_lshl_or_b32 v0, s3, 9, v0
	s_mov_b32 s3, exec_lo
	s_wait_kmcnt 0x0
	v_cmpx_gt_i64_e64 s[8:9], v[0:1]
	s_cbranch_execz .LBB4_7
; %bb.6:
	s_clause 0x1
	s_load_b128 s[8:11], s[0:1], 0x8
	s_load_b64 s[12:13], s[0:1], 0x18
	s_mov_b32 s3, 0
	s_mov_b32 s5, s6
	s_delay_alu instid0(SALU_CYCLE_1)
	v_mov_b64_e32 v[6:7], s[4:5]
	s_wait_kmcnt 0x0
	v_lshl_add_u64 v[2:3], v[0:1], 3, s[10:11]
	v_lshl_add_u64 v[0:1], v[0:1], 2, s[8:9]
	global_load_b64 v[2:3], v[2:3], off
	s_wait_loadcnt 0x0
	v_sub_nc_u64_e64 v[2:3], v[2:3], s[2:3]
	s_delay_alu instid0(VALU_DEP_1)
	v_lshl_add_u64 v[2:3], v[2:3], 2, s[12:13]
	global_load_b32 v5, v[2:3], off
	global_load_b32 v4, v[0:1], off
	s_wait_loadcnt 0x0
	v_dual_mov_b32 v8, v5 :: v_dual_mov_b32 v9, v4
	v_pk_mul_f32 v[4:5], v[6:7], v[4:5]
	s_delay_alu instid0(VALU_DEP_2) | instskip(NEXT) | instid1(VALU_DEP_1)
	v_pk_mul_f32 v[6:7], v[6:7], v[8:9]
	v_dual_add_f32 v4, v4, v5 :: v_dual_sub_f32 v5, v6, v7
	global_store_b32 v[0:1], v4, off
	global_store_b32 v[2:3], v5, off
.LBB4_7:
	s_endpgm
	.section	.rodata,"a",@progbits
	.p2align	6, 0x0
	.amdhsa_kernel _ZN9rocsparseL11roti_kernelILj512ElfEEvT0_PT1_PKS1_S3_NS_24const_host_device_scalarIS2_EES7_21rocsparse_index_base_b
		.amdhsa_group_segment_fixed_size 0
		.amdhsa_private_segment_fixed_size 0
		.amdhsa_kernarg_size 56
		.amdhsa_user_sgpr_count 2
		.amdhsa_user_sgpr_dispatch_ptr 0
		.amdhsa_user_sgpr_queue_ptr 0
		.amdhsa_user_sgpr_kernarg_segment_ptr 1
		.amdhsa_user_sgpr_dispatch_id 0
		.amdhsa_user_sgpr_kernarg_preload_length 0
		.amdhsa_user_sgpr_kernarg_preload_offset 0
		.amdhsa_user_sgpr_private_segment_size 0
		.amdhsa_wavefront_size32 1
		.amdhsa_uses_dynamic_stack 0
		.amdhsa_enable_private_segment 0
		.amdhsa_system_sgpr_workgroup_id_x 1
		.amdhsa_system_sgpr_workgroup_id_y 0
		.amdhsa_system_sgpr_workgroup_id_z 0
		.amdhsa_system_sgpr_workgroup_info 0
		.amdhsa_system_vgpr_workitem_id 0
		.amdhsa_next_free_vgpr 10
		.amdhsa_next_free_sgpr 14
		.amdhsa_named_barrier_count 0
		.amdhsa_reserve_vcc 1
		.amdhsa_float_round_mode_32 0
		.amdhsa_float_round_mode_16_64 0
		.amdhsa_float_denorm_mode_32 3
		.amdhsa_float_denorm_mode_16_64 3
		.amdhsa_fp16_overflow 0
		.amdhsa_memory_ordered 1
		.amdhsa_forward_progress 1
		.amdhsa_inst_pref_size 3
		.amdhsa_round_robin_scheduling 0
		.amdhsa_exception_fp_ieee_invalid_op 0
		.amdhsa_exception_fp_denorm_src 0
		.amdhsa_exception_fp_ieee_div_zero 0
		.amdhsa_exception_fp_ieee_overflow 0
		.amdhsa_exception_fp_ieee_underflow 0
		.amdhsa_exception_fp_ieee_inexact 0
		.amdhsa_exception_int_div_zero 0
	.end_amdhsa_kernel
	.section	.text._ZN9rocsparseL11roti_kernelILj512ElfEEvT0_PT1_PKS1_S3_NS_24const_host_device_scalarIS2_EES7_21rocsparse_index_base_b,"axG",@progbits,_ZN9rocsparseL11roti_kernelILj512ElfEEvT0_PT1_PKS1_S3_NS_24const_host_device_scalarIS2_EES7_21rocsparse_index_base_b,comdat
.Lfunc_end4:
	.size	_ZN9rocsparseL11roti_kernelILj512ElfEEvT0_PT1_PKS1_S3_NS_24const_host_device_scalarIS2_EES7_21rocsparse_index_base_b, .Lfunc_end4-_ZN9rocsparseL11roti_kernelILj512ElfEEvT0_PT1_PKS1_S3_NS_24const_host_device_scalarIS2_EES7_21rocsparse_index_base_b
                                        ; -- End function
	.set _ZN9rocsparseL11roti_kernelILj512ElfEEvT0_PT1_PKS1_S3_NS_24const_host_device_scalarIS2_EES7_21rocsparse_index_base_b.num_vgpr, 10
	.set _ZN9rocsparseL11roti_kernelILj512ElfEEvT0_PT1_PKS1_S3_NS_24const_host_device_scalarIS2_EES7_21rocsparse_index_base_b.num_agpr, 0
	.set _ZN9rocsparseL11roti_kernelILj512ElfEEvT0_PT1_PKS1_S3_NS_24const_host_device_scalarIS2_EES7_21rocsparse_index_base_b.numbered_sgpr, 14
	.set _ZN9rocsparseL11roti_kernelILj512ElfEEvT0_PT1_PKS1_S3_NS_24const_host_device_scalarIS2_EES7_21rocsparse_index_base_b.num_named_barrier, 0
	.set _ZN9rocsparseL11roti_kernelILj512ElfEEvT0_PT1_PKS1_S3_NS_24const_host_device_scalarIS2_EES7_21rocsparse_index_base_b.private_seg_size, 0
	.set _ZN9rocsparseL11roti_kernelILj512ElfEEvT0_PT1_PKS1_S3_NS_24const_host_device_scalarIS2_EES7_21rocsparse_index_base_b.uses_vcc, 1
	.set _ZN9rocsparseL11roti_kernelILj512ElfEEvT0_PT1_PKS1_S3_NS_24const_host_device_scalarIS2_EES7_21rocsparse_index_base_b.uses_flat_scratch, 0
	.set _ZN9rocsparseL11roti_kernelILj512ElfEEvT0_PT1_PKS1_S3_NS_24const_host_device_scalarIS2_EES7_21rocsparse_index_base_b.has_dyn_sized_stack, 0
	.set _ZN9rocsparseL11roti_kernelILj512ElfEEvT0_PT1_PKS1_S3_NS_24const_host_device_scalarIS2_EES7_21rocsparse_index_base_b.has_recursion, 0
	.set _ZN9rocsparseL11roti_kernelILj512ElfEEvT0_PT1_PKS1_S3_NS_24const_host_device_scalarIS2_EES7_21rocsparse_index_base_b.has_indirect_call, 0
	.section	.AMDGPU.csdata,"",@progbits
; Kernel info:
; codeLenInByte = 372
; TotalNumSgprs: 16
; NumVgprs: 10
; ScratchSize: 0
; MemoryBound: 0
; FloatMode: 240
; IeeeMode: 1
; LDSByteSize: 0 bytes/workgroup (compile time only)
; SGPRBlocks: 0
; VGPRBlocks: 0
; NumSGPRsForWavesPerEU: 16
; NumVGPRsForWavesPerEU: 10
; NamedBarCnt: 0
; Occupancy: 16
; WaveLimiterHint : 1
; COMPUTE_PGM_RSRC2:SCRATCH_EN: 0
; COMPUTE_PGM_RSRC2:USER_SGPR: 2
; COMPUTE_PGM_RSRC2:TRAP_HANDLER: 0
; COMPUTE_PGM_RSRC2:TGID_X_EN: 1
; COMPUTE_PGM_RSRC2:TGID_Y_EN: 0
; COMPUTE_PGM_RSRC2:TGID_Z_EN: 0
; COMPUTE_PGM_RSRC2:TIDIG_COMP_CNT: 0
	.section	.text._ZN9rocsparseL11roti_kernelILj512El21rocsparse_complex_numIfEEEvT0_PT1_PKS3_S5_NS_24const_host_device_scalarIS4_EES9_21rocsparse_index_base_b,"axG",@progbits,_ZN9rocsparseL11roti_kernelILj512El21rocsparse_complex_numIfEEEvT0_PT1_PKS3_S5_NS_24const_host_device_scalarIS4_EES9_21rocsparse_index_base_b,comdat
	.globl	_ZN9rocsparseL11roti_kernelILj512El21rocsparse_complex_numIfEEEvT0_PT1_PKS3_S5_NS_24const_host_device_scalarIS4_EES9_21rocsparse_index_base_b ; -- Begin function _ZN9rocsparseL11roti_kernelILj512El21rocsparse_complex_numIfEEEvT0_PT1_PKS3_S5_NS_24const_host_device_scalarIS4_EES9_21rocsparse_index_base_b
	.p2align	8
	.type	_ZN9rocsparseL11roti_kernelILj512El21rocsparse_complex_numIfEEEvT0_PT1_PKS3_S5_NS_24const_host_device_scalarIS4_EES9_21rocsparse_index_base_b,@function
_ZN9rocsparseL11roti_kernelILj512El21rocsparse_complex_numIfEEEvT0_PT1_PKS3_S5_NS_24const_host_device_scalarIS4_EES9_21rocsparse_index_base_b: ; @_ZN9rocsparseL11roti_kernelILj512El21rocsparse_complex_numIfEEEvT0_PT1_PKS3_S5_NS_24const_host_device_scalarIS4_EES9_21rocsparse_index_base_b
; %bb.0:
	s_clause 0x1
	s_load_b64 s[6:7], s[0:1], 0x30
	s_load_b128 s[8:11], s[0:1], 0x20
	v_mov_b32_e32 v1, 0
	s_add_nc_u64 s[2:3], s[0:1], 32
	s_add_nc_u64 s[4:5], s[0:1], 40
	s_wait_kmcnt 0x0
	s_bitcmp1_b32 s7, 0
	s_cselect_b32 s3, s3, s9
	s_cselect_b32 s2, s2, s8
	;; [unrolled: 1-line block ×4, first 2 shown]
	s_clause 0x1
	flat_load_b64 v[2:3], v1, s[2:3]
	flat_load_b64 v[4:5], v1, s[4:5]
	s_wait_loadcnt_dscnt 0x101
	v_cmp_eq_f32_e32 vcc_lo, 1.0, v2
	v_cmp_eq_f32_e64 s2, 0, v3
	s_wait_loadcnt_dscnt 0x0
	v_cmp_eq_f32_e64 s3, 0, v4
	v_cmp_eq_f32_e64 s4, 0, v5
	s_and_b32 s2, vcc_lo, s2
	s_and_b32 s3, s3, s4
	s_delay_alu instid0(SALU_CYCLE_1) | instskip(NEXT) | instid1(SALU_CYCLE_1)
	s_and_b32 s2, s2, s3
	s_xor_b32 s2, s2, -1
	s_delay_alu instid0(SALU_CYCLE_1)
	s_and_saveexec_b32 s3, s2
	s_cbranch_execz .LBB5_3
; %bb.1:
	s_load_b64 s[2:3], s[0:1], 0x0
	s_bfe_u32 s4, ttmp6, 0x4000c
	s_and_b32 s5, ttmp6, 15
	s_add_co_i32 s4, s4, 1
	s_getreg_b32 s7, hwreg(HW_REG_IB_STS2, 6, 4)
	s_mul_i32 s4, ttmp9, s4
	s_delay_alu instid0(SALU_CYCLE_1) | instskip(SKIP_2) | instid1(SALU_CYCLE_1)
	s_add_co_i32 s5, s5, s4
	s_cmp_eq_u32 s7, 0
	s_cselect_b32 s4, ttmp9, s5
	v_lshl_or_b32 v0, s4, 9, v0
	s_wait_kmcnt 0x0
	s_delay_alu instid0(VALU_DEP_1)
	v_cmp_gt_i64_e32 vcc_lo, s[2:3], v[0:1]
	s_and_b32 exec_lo, exec_lo, vcc_lo
	s_cbranch_execz .LBB5_3
; %bb.2:
	s_load_b128 s[8:11], s[0:1], 0x8
	v_lshlrev_b64_e32 v[0:1], 3, v[0:1]
	s_wait_xcnt 0x0
	s_load_b64 s[0:1], s[0:1], 0x18
	s_mov_b32 s7, 0
	v_xor_b32_e32 v12, 0x80000000, v3
	v_xor_b32_e32 v14, 0x80000000, v5
	v_dual_mov_b32 v13, v2 :: v_dual_mov_b32 v15, v4
	s_wait_kmcnt 0x0
	v_add_nc_u64_e32 v[6:7], s[10:11], v[0:1]
	v_add_nc_u64_e32 v[0:1], s[8:9], v[0:1]
	global_load_b64 v[6:7], v[6:7], off
	s_wait_loadcnt 0x0
	v_sub_nc_u64_e64 v[6:7], v[6:7], s[6:7]
	s_delay_alu instid0(VALU_DEP_1)
	v_lshl_add_u64 v[6:7], v[6:7], 3, s[0:1]
	global_load_b64 v[8:9], v[0:1], off
	global_load_b64 v[10:11], v[6:7], off
	s_wait_loadcnt 0x1
	v_pk_mul_f32 v[16:17], v[8:9], v[12:13] op_sel:[1,0]
	v_pk_mul_f32 v[18:19], v[8:9], v[14:15] op_sel:[1,0]
	s_wait_loadcnt 0x0
	v_pk_mul_f32 v[14:15], v[10:11], v[14:15] op_sel:[1,0]
	v_pk_mul_f32 v[12:13], v[10:11], v[12:13] op_sel:[1,0]
	v_pk_fma_f32 v[16:17], v[2:3], v[8:9], v[16:17] op_sel_hi:[1,0,1]
	v_pk_fma_f32 v[8:9], v[4:5], v[8:9], v[18:19] op_sel_hi:[1,0,1]
	s_delay_alu instid0(VALU_DEP_4) | instskip(NEXT) | instid1(VALU_DEP_4)
	v_pk_fma_f32 v[4:5], v[4:5], v[10:11], v[14:15] op_sel_hi:[1,0,1]
	v_pk_fma_f32 v[2:3], v[2:3], v[10:11], v[12:13] op_sel_hi:[1,0,1]
	s_delay_alu instid0(VALU_DEP_2) | instskip(NEXT) | instid1(VALU_DEP_2)
	v_pk_add_f32 v[4:5], v[16:17], v[4:5]
	v_pk_add_f32 v[2:3], v[2:3], v[8:9] neg_lo:[0,1] neg_hi:[0,1]
	global_store_b64 v[0:1], v[4:5], off
	global_store_b64 v[6:7], v[2:3], off
.LBB5_3:
	s_endpgm
	.section	.rodata,"a",@progbits
	.p2align	6, 0x0
	.amdhsa_kernel _ZN9rocsparseL11roti_kernelILj512El21rocsparse_complex_numIfEEEvT0_PT1_PKS3_S5_NS_24const_host_device_scalarIS4_EES9_21rocsparse_index_base_b
		.amdhsa_group_segment_fixed_size 0
		.amdhsa_private_segment_fixed_size 0
		.amdhsa_kernarg_size 56
		.amdhsa_user_sgpr_count 2
		.amdhsa_user_sgpr_dispatch_ptr 0
		.amdhsa_user_sgpr_queue_ptr 0
		.amdhsa_user_sgpr_kernarg_segment_ptr 1
		.amdhsa_user_sgpr_dispatch_id 0
		.amdhsa_user_sgpr_kernarg_preload_length 0
		.amdhsa_user_sgpr_kernarg_preload_offset 0
		.amdhsa_user_sgpr_private_segment_size 0
		.amdhsa_wavefront_size32 1
		.amdhsa_uses_dynamic_stack 0
		.amdhsa_enable_private_segment 0
		.amdhsa_system_sgpr_workgroup_id_x 1
		.amdhsa_system_sgpr_workgroup_id_y 0
		.amdhsa_system_sgpr_workgroup_id_z 0
		.amdhsa_system_sgpr_workgroup_info 0
		.amdhsa_system_vgpr_workitem_id 0
		.amdhsa_next_free_vgpr 20
		.amdhsa_next_free_sgpr 12
		.amdhsa_named_barrier_count 0
		.amdhsa_reserve_vcc 1
		.amdhsa_float_round_mode_32 0
		.amdhsa_float_round_mode_16_64 0
		.amdhsa_float_denorm_mode_32 3
		.amdhsa_float_denorm_mode_16_64 3
		.amdhsa_fp16_overflow 0
		.amdhsa_memory_ordered 1
		.amdhsa_forward_progress 1
		.amdhsa_inst_pref_size 4
		.amdhsa_round_robin_scheduling 0
		.amdhsa_exception_fp_ieee_invalid_op 0
		.amdhsa_exception_fp_denorm_src 0
		.amdhsa_exception_fp_ieee_div_zero 0
		.amdhsa_exception_fp_ieee_overflow 0
		.amdhsa_exception_fp_ieee_underflow 0
		.amdhsa_exception_fp_ieee_inexact 0
		.amdhsa_exception_int_div_zero 0
	.end_amdhsa_kernel
	.section	.text._ZN9rocsparseL11roti_kernelILj512El21rocsparse_complex_numIfEEEvT0_PT1_PKS3_S5_NS_24const_host_device_scalarIS4_EES9_21rocsparse_index_base_b,"axG",@progbits,_ZN9rocsparseL11roti_kernelILj512El21rocsparse_complex_numIfEEEvT0_PT1_PKS3_S5_NS_24const_host_device_scalarIS4_EES9_21rocsparse_index_base_b,comdat
.Lfunc_end5:
	.size	_ZN9rocsparseL11roti_kernelILj512El21rocsparse_complex_numIfEEEvT0_PT1_PKS3_S5_NS_24const_host_device_scalarIS4_EES9_21rocsparse_index_base_b, .Lfunc_end5-_ZN9rocsparseL11roti_kernelILj512El21rocsparse_complex_numIfEEEvT0_PT1_PKS3_S5_NS_24const_host_device_scalarIS4_EES9_21rocsparse_index_base_b
                                        ; -- End function
	.set _ZN9rocsparseL11roti_kernelILj512El21rocsparse_complex_numIfEEEvT0_PT1_PKS3_S5_NS_24const_host_device_scalarIS4_EES9_21rocsparse_index_base_b.num_vgpr, 20
	.set _ZN9rocsparseL11roti_kernelILj512El21rocsparse_complex_numIfEEEvT0_PT1_PKS3_S5_NS_24const_host_device_scalarIS4_EES9_21rocsparse_index_base_b.num_agpr, 0
	.set _ZN9rocsparseL11roti_kernelILj512El21rocsparse_complex_numIfEEEvT0_PT1_PKS3_S5_NS_24const_host_device_scalarIS4_EES9_21rocsparse_index_base_b.numbered_sgpr, 12
	.set _ZN9rocsparseL11roti_kernelILj512El21rocsparse_complex_numIfEEEvT0_PT1_PKS3_S5_NS_24const_host_device_scalarIS4_EES9_21rocsparse_index_base_b.num_named_barrier, 0
	.set _ZN9rocsparseL11roti_kernelILj512El21rocsparse_complex_numIfEEEvT0_PT1_PKS3_S5_NS_24const_host_device_scalarIS4_EES9_21rocsparse_index_base_b.private_seg_size, 0
	.set _ZN9rocsparseL11roti_kernelILj512El21rocsparse_complex_numIfEEEvT0_PT1_PKS3_S5_NS_24const_host_device_scalarIS4_EES9_21rocsparse_index_base_b.uses_vcc, 1
	.set _ZN9rocsparseL11roti_kernelILj512El21rocsparse_complex_numIfEEEvT0_PT1_PKS3_S5_NS_24const_host_device_scalarIS4_EES9_21rocsparse_index_base_b.uses_flat_scratch, 1
	.set _ZN9rocsparseL11roti_kernelILj512El21rocsparse_complex_numIfEEEvT0_PT1_PKS3_S5_NS_24const_host_device_scalarIS4_EES9_21rocsparse_index_base_b.has_dyn_sized_stack, 0
	.set _ZN9rocsparseL11roti_kernelILj512El21rocsparse_complex_numIfEEEvT0_PT1_PKS3_S5_NS_24const_host_device_scalarIS4_EES9_21rocsparse_index_base_b.has_recursion, 0
	.set _ZN9rocsparseL11roti_kernelILj512El21rocsparse_complex_numIfEEEvT0_PT1_PKS3_S5_NS_24const_host_device_scalarIS4_EES9_21rocsparse_index_base_b.has_indirect_call, 0
	.section	.AMDGPU.csdata,"",@progbits
; Kernel info:
; codeLenInByte = 480
; TotalNumSgprs: 14
; NumVgprs: 20
; ScratchSize: 0
; MemoryBound: 0
; FloatMode: 240
; IeeeMode: 1
; LDSByteSize: 0 bytes/workgroup (compile time only)
; SGPRBlocks: 0
; VGPRBlocks: 1
; NumSGPRsForWavesPerEU: 14
; NumVGPRsForWavesPerEU: 20
; NamedBarCnt: 0
; Occupancy: 16
; WaveLimiterHint : 1
; COMPUTE_PGM_RSRC2:SCRATCH_EN: 0
; COMPUTE_PGM_RSRC2:USER_SGPR: 2
; COMPUTE_PGM_RSRC2:TRAP_HANDLER: 0
; COMPUTE_PGM_RSRC2:TGID_X_EN: 1
; COMPUTE_PGM_RSRC2:TGID_Y_EN: 0
; COMPUTE_PGM_RSRC2:TGID_Z_EN: 0
; COMPUTE_PGM_RSRC2:TIDIG_COMP_CNT: 0
	.section	.text._ZN9rocsparseL11roti_kernelILj512EldEEvT0_PT1_PKS1_S3_NS_24const_host_device_scalarIS2_EES7_21rocsparse_index_base_b,"axG",@progbits,_ZN9rocsparseL11roti_kernelILj512EldEEvT0_PT1_PKS1_S3_NS_24const_host_device_scalarIS2_EES7_21rocsparse_index_base_b,comdat
	.globl	_ZN9rocsparseL11roti_kernelILj512EldEEvT0_PT1_PKS1_S3_NS_24const_host_device_scalarIS2_EES7_21rocsparse_index_base_b ; -- Begin function _ZN9rocsparseL11roti_kernelILj512EldEEvT0_PT1_PKS1_S3_NS_24const_host_device_scalarIS2_EES7_21rocsparse_index_base_b
	.p2align	8
	.type	_ZN9rocsparseL11roti_kernelILj512EldEEvT0_PT1_PKS1_S3_NS_24const_host_device_scalarIS2_EES7_21rocsparse_index_base_b,@function
_ZN9rocsparseL11roti_kernelILj512EldEEvT0_PT1_PKS1_S3_NS_24const_host_device_scalarIS2_EES7_21rocsparse_index_base_b: ; @_ZN9rocsparseL11roti_kernelILj512EldEEvT0_PT1_PKS1_S3_NS_24const_host_device_scalarIS2_EES7_21rocsparse_index_base_b
; %bb.0:
	s_clause 0x1
	s_load_b64 s[8:9], s[0:1], 0x30
	s_load_b128 s[4:7], s[0:1], 0x20
	s_wait_kmcnt 0x0
	s_bitcmp1_b32 s9, 0
	v_mov_b64_e32 v[2:3], s[4:5]
	s_cselect_b32 s2, -1, 0
	s_delay_alu instid0(SALU_CYCLE_1)
	s_and_b32 vcc_lo, exec_lo, s2
	s_xor_b32 s2, s2, -1
	s_cbranch_vccnz .LBB6_2
; %bb.1:
	v_mov_b32_e32 v1, 0
	flat_load_b64 v[2:3], v1, s[4:5]
.LBB6_2:
	v_mov_b64_e32 v[4:5], s[6:7]
	s_and_not1_b32 vcc_lo, exec_lo, s2
	s_cbranch_vccnz .LBB6_4
; %bb.3:
	s_wait_xcnt 0x0
	v_mov_b32_e32 v1, 0
	flat_load_b64 v[4:5], v1, s[6:7]
.LBB6_4:
	s_wait_loadcnt_dscnt 0x0
	v_cmp_neq_f64_e32 vcc_lo, 1.0, v[2:3]
	s_delay_alu instid0(VALU_DEP_2) | instskip(SKIP_1) | instid1(SALU_CYCLE_1)
	v_cmp_neq_f64_e64 s2, 0, v[4:5]
	s_or_b32 s2, vcc_lo, s2
	s_and_saveexec_b32 s3, s2
	s_cbranch_execz .LBB6_7
; %bb.5:
	s_load_b64 s[2:3], s[0:1], 0x0
	s_bfe_u32 s4, ttmp6, 0x4000c
	s_and_b32 s5, ttmp6, 15
	s_add_co_i32 s4, s4, 1
	s_getreg_b32 s6, hwreg(HW_REG_IB_STS2, 6, 4)
	s_mul_i32 s4, ttmp9, s4
	v_mov_b32_e32 v1, 0
	s_add_co_i32 s5, s5, s4
	s_cmp_eq_u32 s6, 0
	s_mov_b32 s9, 0
	s_cselect_b32 s4, ttmp9, s5
	s_delay_alu instid0(SALU_CYCLE_1) | instskip(SKIP_1) | instid1(VALU_DEP_1)
	v_lshl_or_b32 v0, s4, 9, v0
	s_wait_kmcnt 0x0
	v_cmp_gt_i64_e32 vcc_lo, s[2:3], v[0:1]
	s_and_b32 exec_lo, exec_lo, vcc_lo
	s_cbranch_execz .LBB6_7
; %bb.6:
	s_load_b128 s[4:7], s[0:1], 0x8
	v_lshlrev_b64_e32 v[0:1], 3, v[0:1]
	s_wait_xcnt 0x0
	s_load_b64 s[0:1], s[0:1], 0x18
	s_wait_kmcnt 0x0
	s_delay_alu instid0(VALU_DEP_1) | instskip(SKIP_4) | instid1(VALU_DEP_1)
	v_add_nc_u64_e32 v[6:7], s[6:7], v[0:1]
	v_add_nc_u64_e32 v[0:1], s[4:5], v[0:1]
	global_load_b64 v[6:7], v[6:7], off
	s_wait_loadcnt 0x0
	v_sub_nc_u64_e64 v[6:7], v[6:7], s[8:9]
	v_lshl_add_u64 v[6:7], v[6:7], 3, s[0:1]
	global_load_b64 v[8:9], v[6:7], off
	global_load_b64 v[10:11], v[0:1], off
	s_wait_loadcnt 0x1
	v_mul_f64_e32 v[12:13], v[4:5], v[8:9]
	s_wait_loadcnt 0x0
	v_mul_f64_e32 v[4:5], v[4:5], v[10:11]
	s_delay_alu instid0(VALU_DEP_2) | instskip(NEXT) | instid1(VALU_DEP_2)
	v_fmac_f64_e32 v[12:13], v[2:3], v[10:11]
	v_fma_f64 v[2:3], v[2:3], v[8:9], -v[4:5]
	global_store_b64 v[0:1], v[12:13], off
	global_store_b64 v[6:7], v[2:3], off
.LBB6_7:
	s_endpgm
	.section	.rodata,"a",@progbits
	.p2align	6, 0x0
	.amdhsa_kernel _ZN9rocsparseL11roti_kernelILj512EldEEvT0_PT1_PKS1_S3_NS_24const_host_device_scalarIS2_EES7_21rocsparse_index_base_b
		.amdhsa_group_segment_fixed_size 0
		.amdhsa_private_segment_fixed_size 0
		.amdhsa_kernarg_size 56
		.amdhsa_user_sgpr_count 2
		.amdhsa_user_sgpr_dispatch_ptr 0
		.amdhsa_user_sgpr_queue_ptr 0
		.amdhsa_user_sgpr_kernarg_segment_ptr 1
		.amdhsa_user_sgpr_dispatch_id 0
		.amdhsa_user_sgpr_kernarg_preload_length 0
		.amdhsa_user_sgpr_kernarg_preload_offset 0
		.amdhsa_user_sgpr_private_segment_size 0
		.amdhsa_wavefront_size32 1
		.amdhsa_uses_dynamic_stack 0
		.amdhsa_enable_private_segment 0
		.amdhsa_system_sgpr_workgroup_id_x 1
		.amdhsa_system_sgpr_workgroup_id_y 0
		.amdhsa_system_sgpr_workgroup_id_z 0
		.amdhsa_system_sgpr_workgroup_info 0
		.amdhsa_system_vgpr_workitem_id 0
		.amdhsa_next_free_vgpr 14
		.amdhsa_next_free_sgpr 10
		.amdhsa_named_barrier_count 0
		.amdhsa_reserve_vcc 1
		.amdhsa_float_round_mode_32 0
		.amdhsa_float_round_mode_16_64 0
		.amdhsa_float_denorm_mode_32 3
		.amdhsa_float_denorm_mode_16_64 3
		.amdhsa_fp16_overflow 0
		.amdhsa_memory_ordered 1
		.amdhsa_forward_progress 1
		.amdhsa_inst_pref_size 3
		.amdhsa_round_robin_scheduling 0
		.amdhsa_exception_fp_ieee_invalid_op 0
		.amdhsa_exception_fp_denorm_src 0
		.amdhsa_exception_fp_ieee_div_zero 0
		.amdhsa_exception_fp_ieee_overflow 0
		.amdhsa_exception_fp_ieee_underflow 0
		.amdhsa_exception_fp_ieee_inexact 0
		.amdhsa_exception_int_div_zero 0
	.end_amdhsa_kernel
	.section	.text._ZN9rocsparseL11roti_kernelILj512EldEEvT0_PT1_PKS1_S3_NS_24const_host_device_scalarIS2_EES7_21rocsparse_index_base_b,"axG",@progbits,_ZN9rocsparseL11roti_kernelILj512EldEEvT0_PT1_PKS1_S3_NS_24const_host_device_scalarIS2_EES7_21rocsparse_index_base_b,comdat
.Lfunc_end6:
	.size	_ZN9rocsparseL11roti_kernelILj512EldEEvT0_PT1_PKS1_S3_NS_24const_host_device_scalarIS2_EES7_21rocsparse_index_base_b, .Lfunc_end6-_ZN9rocsparseL11roti_kernelILj512EldEEvT0_PT1_PKS1_S3_NS_24const_host_device_scalarIS2_EES7_21rocsparse_index_base_b
                                        ; -- End function
	.set _ZN9rocsparseL11roti_kernelILj512EldEEvT0_PT1_PKS1_S3_NS_24const_host_device_scalarIS2_EES7_21rocsparse_index_base_b.num_vgpr, 14
	.set _ZN9rocsparseL11roti_kernelILj512EldEEvT0_PT1_PKS1_S3_NS_24const_host_device_scalarIS2_EES7_21rocsparse_index_base_b.num_agpr, 0
	.set _ZN9rocsparseL11roti_kernelILj512EldEEvT0_PT1_PKS1_S3_NS_24const_host_device_scalarIS2_EES7_21rocsparse_index_base_b.numbered_sgpr, 10
	.set _ZN9rocsparseL11roti_kernelILj512EldEEvT0_PT1_PKS1_S3_NS_24const_host_device_scalarIS2_EES7_21rocsparse_index_base_b.num_named_barrier, 0
	.set _ZN9rocsparseL11roti_kernelILj512EldEEvT0_PT1_PKS1_S3_NS_24const_host_device_scalarIS2_EES7_21rocsparse_index_base_b.private_seg_size, 0
	.set _ZN9rocsparseL11roti_kernelILj512EldEEvT0_PT1_PKS1_S3_NS_24const_host_device_scalarIS2_EES7_21rocsparse_index_base_b.uses_vcc, 1
	.set _ZN9rocsparseL11roti_kernelILj512EldEEvT0_PT1_PKS1_S3_NS_24const_host_device_scalarIS2_EES7_21rocsparse_index_base_b.uses_flat_scratch, 0
	.set _ZN9rocsparseL11roti_kernelILj512EldEEvT0_PT1_PKS1_S3_NS_24const_host_device_scalarIS2_EES7_21rocsparse_index_base_b.has_dyn_sized_stack, 0
	.set _ZN9rocsparseL11roti_kernelILj512EldEEvT0_PT1_PKS1_S3_NS_24const_host_device_scalarIS2_EES7_21rocsparse_index_base_b.has_recursion, 0
	.set _ZN9rocsparseL11roti_kernelILj512EldEEvT0_PT1_PKS1_S3_NS_24const_host_device_scalarIS2_EES7_21rocsparse_index_base_b.has_indirect_call, 0
	.section	.AMDGPU.csdata,"",@progbits
; Kernel info:
; codeLenInByte = 368
; TotalNumSgprs: 12
; NumVgprs: 14
; ScratchSize: 0
; MemoryBound: 0
; FloatMode: 240
; IeeeMode: 1
; LDSByteSize: 0 bytes/workgroup (compile time only)
; SGPRBlocks: 0
; VGPRBlocks: 0
; NumSGPRsForWavesPerEU: 12
; NumVGPRsForWavesPerEU: 14
; NamedBarCnt: 0
; Occupancy: 16
; WaveLimiterHint : 1
; COMPUTE_PGM_RSRC2:SCRATCH_EN: 0
; COMPUTE_PGM_RSRC2:USER_SGPR: 2
; COMPUTE_PGM_RSRC2:TRAP_HANDLER: 0
; COMPUTE_PGM_RSRC2:TGID_X_EN: 1
; COMPUTE_PGM_RSRC2:TGID_Y_EN: 0
; COMPUTE_PGM_RSRC2:TGID_Z_EN: 0
; COMPUTE_PGM_RSRC2:TIDIG_COMP_CNT: 0
	.section	.text._ZN9rocsparseL11roti_kernelILj512El21rocsparse_complex_numIdEEEvT0_PT1_PKS3_S5_NS_24const_host_device_scalarIS4_EES9_21rocsparse_index_base_b,"axG",@progbits,_ZN9rocsparseL11roti_kernelILj512El21rocsparse_complex_numIdEEEvT0_PT1_PKS3_S5_NS_24const_host_device_scalarIS4_EES9_21rocsparse_index_base_b,comdat
	.globl	_ZN9rocsparseL11roti_kernelILj512El21rocsparse_complex_numIdEEEvT0_PT1_PKS3_S5_NS_24const_host_device_scalarIS4_EES9_21rocsparse_index_base_b ; -- Begin function _ZN9rocsparseL11roti_kernelILj512El21rocsparse_complex_numIdEEEvT0_PT1_PKS3_S5_NS_24const_host_device_scalarIS4_EES9_21rocsparse_index_base_b
	.p2align	8
	.type	_ZN9rocsparseL11roti_kernelILj512El21rocsparse_complex_numIdEEEvT0_PT1_PKS3_S5_NS_24const_host_device_scalarIS4_EES9_21rocsparse_index_base_b,@function
_ZN9rocsparseL11roti_kernelILj512El21rocsparse_complex_numIdEEEvT0_PT1_PKS3_S5_NS_24const_host_device_scalarIS4_EES9_21rocsparse_index_base_b: ; @_ZN9rocsparseL11roti_kernelILj512El21rocsparse_complex_numIdEEEvT0_PT1_PKS3_S5_NS_24const_host_device_scalarIS4_EES9_21rocsparse_index_base_b
; %bb.0:
	s_clause 0x1
	s_load_b64 s[4:5], s[0:1], 0x40
	s_load_b64 s[2:3], s[0:1], 0x20
	v_mov_b32_e32 v1, 0
	s_add_nc_u64 s[6:7], s[0:1], 32
	s_load_b64 s[8:9], s[0:1], 0x30
	s_wait_kmcnt 0x0
	s_bitcmp1_b32 s5, 0
	s_cselect_b32 s3, s7, s3
	s_cselect_b32 s2, s6, s2
	flat_load_b128 v[2:5], v1, s[2:3]
	s_wait_xcnt 0x0
	s_add_nc_u64 s[2:3], s[0:1], 48
	s_delay_alu instid0(SALU_CYCLE_1)
	s_cselect_b32 s3, s3, s9
	s_cselect_b32 s2, s2, s8
	flat_load_b128 v[6:9], v1, s[2:3]
	s_wait_loadcnt_dscnt 0x101
	v_cmp_eq_f64_e32 vcc_lo, 1.0, v[2:3]
	s_wait_xcnt 0x0
	v_cmp_eq_f64_e64 s2, 0, v[4:5]
	s_and_b32 s5, vcc_lo, s2
	s_mov_b32 s2, -1
	s_and_saveexec_b32 s3, s5
	s_cbranch_execz .LBB7_2
; %bb.1:
	s_wait_loadcnt_dscnt 0x0
	v_cmp_neq_f64_e32 vcc_lo, 0, v[6:7]
	v_cmp_neq_f64_e64 s2, 0, v[8:9]
	s_or_b32 s2, vcc_lo, s2
	s_delay_alu instid0(SALU_CYCLE_1)
	s_or_not1_b32 s2, s2, exec_lo
.LBB7_2:
	s_or_b32 exec_lo, exec_lo, s3
	s_and_saveexec_b32 s3, s2
	s_cbranch_execz .LBB7_5
; %bb.3:
	s_load_b64 s[2:3], s[0:1], 0x0
	s_bfe_u32 s5, ttmp6, 0x4000c
	s_and_b32 s6, ttmp6, 15
	s_add_co_i32 s5, s5, 1
	s_getreg_b32 s7, hwreg(HW_REG_IB_STS2, 6, 4)
	s_mul_i32 s5, ttmp9, s5
	v_mov_b32_e32 v1, 0
	s_add_co_i32 s6, s6, s5
	s_cmp_eq_u32 s7, 0
	s_cselect_b32 s5, ttmp9, s6
	s_delay_alu instid0(SALU_CYCLE_1) | instskip(SKIP_2) | instid1(VALU_DEP_1)
	v_lshl_or_b32 v0, s5, 9, v0
	s_mov_b32 s5, 0
	s_wait_kmcnt 0x0
	v_cmp_gt_i64_e32 vcc_lo, s[2:3], v[0:1]
	s_and_b32 exec_lo, exec_lo, vcc_lo
	s_cbranch_execz .LBB7_5
; %bb.4:
	s_clause 0x1
	s_load_b128 s[8:11], s[0:1], 0x8
	s_load_b64 s[2:3], s[0:1], 0x18
	s_wait_kmcnt 0x0
	v_lshl_add_u64 v[10:11], v[0:1], 3, s[10:11]
	v_lshl_add_u64 v[18:19], v[0:1], 4, s[8:9]
	global_load_b64 v[10:11], v[10:11], off
	s_wait_loadcnt 0x0
	v_sub_nc_u64_e64 v[10:11], v[10:11], s[4:5]
	s_delay_alu instid0(VALU_DEP_1)
	v_lshl_add_u64 v[20:21], v[10:11], 4, s[2:3]
	global_load_b128 v[10:13], v[18:19], off
	global_load_b128 v[14:17], v[20:21], off
	s_wait_loadcnt 0x1
	v_mul_f64_e64 v[0:1], v[12:13], -v[4:5]
	v_mul_f64_e32 v[22:23], v[2:3], v[12:13]
	s_wait_loadcnt_dscnt 0x0
	v_mul_f64_e64 v[26:27], v[16:17], -v[8:9]
	v_mul_f64_e32 v[28:29], v[6:7], v[16:17]
	v_mul_f64_e64 v[24:25], v[12:13], -v[8:9]
	v_mul_f64_e32 v[12:13], v[6:7], v[12:13]
	;; [unrolled: 2-line block ×3, first 2 shown]
	v_fmac_f64_e32 v[0:1], v[2:3], v[10:11]
	v_fmac_f64_e32 v[22:23], v[4:5], v[10:11]
	;; [unrolled: 1-line block ×8, first 2 shown]
	v_add_f64_e32 v[0:1], v[0:1], v[26:27]
	v_add_f64_e32 v[2:3], v[22:23], v[28:29]
	s_delay_alu instid0(VALU_DEP_4) | instskip(NEXT) | instid1(VALU_DEP_4)
	v_add_f64_e64 v[4:5], v[30:31], -v[24:25]
	v_add_f64_e64 v[6:7], v[16:17], -v[12:13]
	global_store_b128 v[18:19], v[0:3], off
	global_store_b128 v[20:21], v[4:7], off
.LBB7_5:
	s_endpgm
	.section	.rodata,"a",@progbits
	.p2align	6, 0x0
	.amdhsa_kernel _ZN9rocsparseL11roti_kernelILj512El21rocsparse_complex_numIdEEEvT0_PT1_PKS3_S5_NS_24const_host_device_scalarIS4_EES9_21rocsparse_index_base_b
		.amdhsa_group_segment_fixed_size 0
		.amdhsa_private_segment_fixed_size 0
		.amdhsa_kernarg_size 72
		.amdhsa_user_sgpr_count 2
		.amdhsa_user_sgpr_dispatch_ptr 0
		.amdhsa_user_sgpr_queue_ptr 0
		.amdhsa_user_sgpr_kernarg_segment_ptr 1
		.amdhsa_user_sgpr_dispatch_id 0
		.amdhsa_user_sgpr_kernarg_preload_length 0
		.amdhsa_user_sgpr_kernarg_preload_offset 0
		.amdhsa_user_sgpr_private_segment_size 0
		.amdhsa_wavefront_size32 1
		.amdhsa_uses_dynamic_stack 0
		.amdhsa_enable_private_segment 0
		.amdhsa_system_sgpr_workgroup_id_x 1
		.amdhsa_system_sgpr_workgroup_id_y 0
		.amdhsa_system_sgpr_workgroup_id_z 0
		.amdhsa_system_sgpr_workgroup_info 0
		.amdhsa_system_vgpr_workitem_id 0
		.amdhsa_next_free_vgpr 32
		.amdhsa_next_free_sgpr 12
		.amdhsa_named_barrier_count 0
		.amdhsa_reserve_vcc 1
		.amdhsa_float_round_mode_32 0
		.amdhsa_float_round_mode_16_64 0
		.amdhsa_float_denorm_mode_32 3
		.amdhsa_float_denorm_mode_16_64 3
		.amdhsa_fp16_overflow 0
		.amdhsa_memory_ordered 1
		.amdhsa_forward_progress 1
		.amdhsa_inst_pref_size 4
		.amdhsa_round_robin_scheduling 0
		.amdhsa_exception_fp_ieee_invalid_op 0
		.amdhsa_exception_fp_denorm_src 0
		.amdhsa_exception_fp_ieee_div_zero 0
		.amdhsa_exception_fp_ieee_overflow 0
		.amdhsa_exception_fp_ieee_underflow 0
		.amdhsa_exception_fp_ieee_inexact 0
		.amdhsa_exception_int_div_zero 0
	.end_amdhsa_kernel
	.section	.text._ZN9rocsparseL11roti_kernelILj512El21rocsparse_complex_numIdEEEvT0_PT1_PKS3_S5_NS_24const_host_device_scalarIS4_EES9_21rocsparse_index_base_b,"axG",@progbits,_ZN9rocsparseL11roti_kernelILj512El21rocsparse_complex_numIdEEEvT0_PT1_PKS3_S5_NS_24const_host_device_scalarIS4_EES9_21rocsparse_index_base_b,comdat
.Lfunc_end7:
	.size	_ZN9rocsparseL11roti_kernelILj512El21rocsparse_complex_numIdEEEvT0_PT1_PKS3_S5_NS_24const_host_device_scalarIS4_EES9_21rocsparse_index_base_b, .Lfunc_end7-_ZN9rocsparseL11roti_kernelILj512El21rocsparse_complex_numIdEEEvT0_PT1_PKS3_S5_NS_24const_host_device_scalarIS4_EES9_21rocsparse_index_base_b
                                        ; -- End function
	.set _ZN9rocsparseL11roti_kernelILj512El21rocsparse_complex_numIdEEEvT0_PT1_PKS3_S5_NS_24const_host_device_scalarIS4_EES9_21rocsparse_index_base_b.num_vgpr, 32
	.set _ZN9rocsparseL11roti_kernelILj512El21rocsparse_complex_numIdEEEvT0_PT1_PKS3_S5_NS_24const_host_device_scalarIS4_EES9_21rocsparse_index_base_b.num_agpr, 0
	.set _ZN9rocsparseL11roti_kernelILj512El21rocsparse_complex_numIdEEEvT0_PT1_PKS3_S5_NS_24const_host_device_scalarIS4_EES9_21rocsparse_index_base_b.numbered_sgpr, 12
	.set _ZN9rocsparseL11roti_kernelILj512El21rocsparse_complex_numIdEEEvT0_PT1_PKS3_S5_NS_24const_host_device_scalarIS4_EES9_21rocsparse_index_base_b.num_named_barrier, 0
	.set _ZN9rocsparseL11roti_kernelILj512El21rocsparse_complex_numIdEEEvT0_PT1_PKS3_S5_NS_24const_host_device_scalarIS4_EES9_21rocsparse_index_base_b.private_seg_size, 0
	.set _ZN9rocsparseL11roti_kernelILj512El21rocsparse_complex_numIdEEEvT0_PT1_PKS3_S5_NS_24const_host_device_scalarIS4_EES9_21rocsparse_index_base_b.uses_vcc, 1
	.set _ZN9rocsparseL11roti_kernelILj512El21rocsparse_complex_numIdEEEvT0_PT1_PKS3_S5_NS_24const_host_device_scalarIS4_EES9_21rocsparse_index_base_b.uses_flat_scratch, 0
	.set _ZN9rocsparseL11roti_kernelILj512El21rocsparse_complex_numIdEEEvT0_PT1_PKS3_S5_NS_24const_host_device_scalarIS4_EES9_21rocsparse_index_base_b.has_dyn_sized_stack, 0
	.set _ZN9rocsparseL11roti_kernelILj512El21rocsparse_complex_numIdEEEvT0_PT1_PKS3_S5_NS_24const_host_device_scalarIS4_EES9_21rocsparse_index_base_b.has_recursion, 0
	.set _ZN9rocsparseL11roti_kernelILj512El21rocsparse_complex_numIdEEEvT0_PT1_PKS3_S5_NS_24const_host_device_scalarIS4_EES9_21rocsparse_index_base_b.has_indirect_call, 0
	.section	.AMDGPU.csdata,"",@progbits
; Kernel info:
; codeLenInByte = 496
; TotalNumSgprs: 14
; NumVgprs: 32
; ScratchSize: 0
; MemoryBound: 0
; FloatMode: 240
; IeeeMode: 1
; LDSByteSize: 0 bytes/workgroup (compile time only)
; SGPRBlocks: 0
; VGPRBlocks: 1
; NumSGPRsForWavesPerEU: 14
; NumVGPRsForWavesPerEU: 32
; NamedBarCnt: 0
; Occupancy: 16
; WaveLimiterHint : 1
; COMPUTE_PGM_RSRC2:SCRATCH_EN: 0
; COMPUTE_PGM_RSRC2:USER_SGPR: 2
; COMPUTE_PGM_RSRC2:TRAP_HANDLER: 0
; COMPUTE_PGM_RSRC2:TGID_X_EN: 1
; COMPUTE_PGM_RSRC2:TGID_Y_EN: 0
; COMPUTE_PGM_RSRC2:TGID_Z_EN: 0
; COMPUTE_PGM_RSRC2:TIDIG_COMP_CNT: 0
	.section	.AMDGPU.gpr_maximums,"",@progbits
	.set amdgpu.max_num_vgpr, 0
	.set amdgpu.max_num_agpr, 0
	.set amdgpu.max_num_sgpr, 0
	.section	.AMDGPU.csdata,"",@progbits
	.type	__hip_cuid_35baf0052a2b5dae,@object ; @__hip_cuid_35baf0052a2b5dae
	.section	.bss,"aw",@nobits
	.globl	__hip_cuid_35baf0052a2b5dae
__hip_cuid_35baf0052a2b5dae:
	.byte	0                               ; 0x0
	.size	__hip_cuid_35baf0052a2b5dae, 1

	.ident	"AMD clang version 22.0.0git (https://github.com/RadeonOpenCompute/llvm-project roc-7.2.4 26084 f58b06dce1f9c15707c5f808fd002e18c2accf7e)"
	.section	".note.GNU-stack","",@progbits
	.addrsig
	.addrsig_sym __hip_cuid_35baf0052a2b5dae
	.amdgpu_metadata
---
amdhsa.kernels:
  - .args:
      - .offset:         0
        .size:           4
        .value_kind:     by_value
      - .address_space:  global
        .offset:         8
        .size:           8
        .value_kind:     global_buffer
      - .actual_access:  read_only
        .address_space:  global
        .offset:         16
        .size:           8
        .value_kind:     global_buffer
      - .address_space:  global
        .offset:         24
        .size:           8
        .value_kind:     global_buffer
      - .offset:         32
        .size:           8
        .value_kind:     by_value
      - .offset:         40
        .size:           8
        .value_kind:     by_value
      - .offset:         48
        .size:           4
        .value_kind:     by_value
      - .offset:         52
        .size:           1
        .value_kind:     by_value
    .group_segment_fixed_size: 0
    .kernarg_segment_align: 8
    .kernarg_segment_size: 56
    .language:       OpenCL C
    .language_version:
      - 2
      - 0
    .max_flat_workgroup_size: 512
    .name:           _ZN9rocsparseL11roti_kernelILj512EifEEvT0_PT1_PKS1_S3_NS_24const_host_device_scalarIS2_EES7_21rocsparse_index_base_b
    .private_segment_fixed_size: 0
    .sgpr_count:     16
    .sgpr_spill_count: 0
    .symbol:         _ZN9rocsparseL11roti_kernelILj512EifEEvT0_PT1_PKS1_S3_NS_24const_host_device_scalarIS2_EES7_21rocsparse_index_base_b.kd
    .uniform_work_group_size: 1
    .uses_dynamic_stack: false
    .vgpr_count:     8
    .vgpr_spill_count: 0
    .wavefront_size: 32
  - .args:
      - .offset:         0
        .size:           4
        .value_kind:     by_value
      - .address_space:  global
        .offset:         8
        .size:           8
        .value_kind:     global_buffer
      - .actual_access:  read_only
        .address_space:  global
        .offset:         16
        .size:           8
        .value_kind:     global_buffer
      - .address_space:  global
        .offset:         24
        .size:           8
        .value_kind:     global_buffer
      - .offset:         32
        .size:           8
        .value_kind:     by_value
      - .offset:         40
        .size:           8
        .value_kind:     by_value
      - .offset:         48
        .size:           4
        .value_kind:     by_value
      - .offset:         52
        .size:           1
        .value_kind:     by_value
    .group_segment_fixed_size: 0
    .kernarg_segment_align: 8
    .kernarg_segment_size: 56
    .language:       OpenCL C
    .language_version:
      - 2
      - 0
    .max_flat_workgroup_size: 512
    .name:           _ZN9rocsparseL11roti_kernelILj512Ei21rocsparse_complex_numIfEEEvT0_PT1_PKS3_S5_NS_24const_host_device_scalarIS4_EES9_21rocsparse_index_base_b
    .private_segment_fixed_size: 0
    .sgpr_count:     14
    .sgpr_spill_count: 0
    .symbol:         _ZN9rocsparseL11roti_kernelILj512Ei21rocsparse_complex_numIfEEEvT0_PT1_PKS3_S5_NS_24const_host_device_scalarIS4_EES9_21rocsparse_index_base_b.kd
    .uniform_work_group_size: 1
    .uses_dynamic_stack: false
    .vgpr_count:     18
    .vgpr_spill_count: 0
    .wavefront_size: 32
  - .args:
      - .offset:         0
        .size:           4
        .value_kind:     by_value
      - .address_space:  global
        .offset:         8
        .size:           8
        .value_kind:     global_buffer
      - .actual_access:  read_only
        .address_space:  global
        .offset:         16
        .size:           8
        .value_kind:     global_buffer
      - .address_space:  global
        .offset:         24
        .size:           8
        .value_kind:     global_buffer
      - .offset:         32
        .size:           8
        .value_kind:     by_value
      - .offset:         40
        .size:           8
        .value_kind:     by_value
      - .offset:         48
        .size:           4
        .value_kind:     by_value
      - .offset:         52
        .size:           1
        .value_kind:     by_value
    .group_segment_fixed_size: 0
    .kernarg_segment_align: 8
    .kernarg_segment_size: 56
    .language:       OpenCL C
    .language_version:
      - 2
      - 0
    .max_flat_workgroup_size: 512
    .name:           _ZN9rocsparseL11roti_kernelILj512EidEEvT0_PT1_PKS1_S3_NS_24const_host_device_scalarIS2_EES7_21rocsparse_index_base_b
    .private_segment_fixed_size: 0
    .sgpr_count:     12
    .sgpr_spill_count: 0
    .symbol:         _ZN9rocsparseL11roti_kernelILj512EidEEvT0_PT1_PKS1_S3_NS_24const_host_device_scalarIS2_EES7_21rocsparse_index_base_b.kd
    .uniform_work_group_size: 1
    .uses_dynamic_stack: false
    .vgpr_count:     12
    .vgpr_spill_count: 0
    .wavefront_size: 32
  - .args:
      - .offset:         0
        .size:           4
        .value_kind:     by_value
      - .address_space:  global
        .offset:         8
        .size:           8
        .value_kind:     global_buffer
      - .actual_access:  read_only
        .address_space:  global
        .offset:         16
        .size:           8
        .value_kind:     global_buffer
      - .address_space:  global
        .offset:         24
        .size:           8
        .value_kind:     global_buffer
      - .offset:         32
        .size:           16
        .value_kind:     by_value
      - .offset:         48
        .size:           16
        .value_kind:     by_value
      - .offset:         64
        .size:           4
        .value_kind:     by_value
      - .offset:         68
        .size:           1
        .value_kind:     by_value
    .group_segment_fixed_size: 0
    .kernarg_segment_align: 8
    .kernarg_segment_size: 72
    .language:       OpenCL C
    .language_version:
      - 2
      - 0
    .max_flat_workgroup_size: 512
    .name:           _ZN9rocsparseL11roti_kernelILj512Ei21rocsparse_complex_numIdEEEvT0_PT1_PKS3_S5_NS_24const_host_device_scalarIS4_EES9_21rocsparse_index_base_b
    .private_segment_fixed_size: 0
    .sgpr_count:     12
    .sgpr_spill_count: 0
    .symbol:         _ZN9rocsparseL11roti_kernelILj512Ei21rocsparse_complex_numIdEEEvT0_PT1_PKS3_S5_NS_24const_host_device_scalarIS4_EES9_21rocsparse_index_base_b.kd
    .uniform_work_group_size: 1
    .uses_dynamic_stack: false
    .vgpr_count:     30
    .vgpr_spill_count: 0
    .wavefront_size: 32
  - .args:
      - .offset:         0
        .size:           8
        .value_kind:     by_value
      - .address_space:  global
        .offset:         8
        .size:           8
        .value_kind:     global_buffer
      - .actual_access:  read_only
        .address_space:  global
        .offset:         16
        .size:           8
        .value_kind:     global_buffer
      - .address_space:  global
        .offset:         24
        .size:           8
        .value_kind:     global_buffer
      - .offset:         32
        .size:           8
        .value_kind:     by_value
      - .offset:         40
        .size:           8
        .value_kind:     by_value
      - .offset:         48
        .size:           4
        .value_kind:     by_value
      - .offset:         52
        .size:           1
        .value_kind:     by_value
    .group_segment_fixed_size: 0
    .kernarg_segment_align: 8
    .kernarg_segment_size: 56
    .language:       OpenCL C
    .language_version:
      - 2
      - 0
    .max_flat_workgroup_size: 512
    .name:           _ZN9rocsparseL11roti_kernelILj512ElfEEvT0_PT1_PKS1_S3_NS_24const_host_device_scalarIS2_EES7_21rocsparse_index_base_b
    .private_segment_fixed_size: 0
    .sgpr_count:     16
    .sgpr_spill_count: 0
    .symbol:         _ZN9rocsparseL11roti_kernelILj512ElfEEvT0_PT1_PKS1_S3_NS_24const_host_device_scalarIS2_EES7_21rocsparse_index_base_b.kd
    .uniform_work_group_size: 1
    .uses_dynamic_stack: false
    .vgpr_count:     10
    .vgpr_spill_count: 0
    .wavefront_size: 32
  - .args:
      - .offset:         0
        .size:           8
        .value_kind:     by_value
      - .address_space:  global
        .offset:         8
        .size:           8
        .value_kind:     global_buffer
      - .actual_access:  read_only
        .address_space:  global
        .offset:         16
        .size:           8
        .value_kind:     global_buffer
      - .address_space:  global
        .offset:         24
        .size:           8
        .value_kind:     global_buffer
      - .offset:         32
        .size:           8
        .value_kind:     by_value
      - .offset:         40
        .size:           8
        .value_kind:     by_value
      - .offset:         48
        .size:           4
        .value_kind:     by_value
      - .offset:         52
        .size:           1
        .value_kind:     by_value
    .group_segment_fixed_size: 0
    .kernarg_segment_align: 8
    .kernarg_segment_size: 56
    .language:       OpenCL C
    .language_version:
      - 2
      - 0
    .max_flat_workgroup_size: 512
    .name:           _ZN9rocsparseL11roti_kernelILj512El21rocsparse_complex_numIfEEEvT0_PT1_PKS3_S5_NS_24const_host_device_scalarIS4_EES9_21rocsparse_index_base_b
    .private_segment_fixed_size: 0
    .sgpr_count:     14
    .sgpr_spill_count: 0
    .symbol:         _ZN9rocsparseL11roti_kernelILj512El21rocsparse_complex_numIfEEEvT0_PT1_PKS3_S5_NS_24const_host_device_scalarIS4_EES9_21rocsparse_index_base_b.kd
    .uniform_work_group_size: 1
    .uses_dynamic_stack: false
    .vgpr_count:     20
    .vgpr_spill_count: 0
    .wavefront_size: 32
  - .args:
      - .offset:         0
        .size:           8
        .value_kind:     by_value
      - .address_space:  global
        .offset:         8
        .size:           8
        .value_kind:     global_buffer
      - .actual_access:  read_only
        .address_space:  global
        .offset:         16
        .size:           8
        .value_kind:     global_buffer
      - .address_space:  global
        .offset:         24
        .size:           8
        .value_kind:     global_buffer
      - .offset:         32
        .size:           8
        .value_kind:     by_value
      - .offset:         40
        .size:           8
        .value_kind:     by_value
      - .offset:         48
        .size:           4
        .value_kind:     by_value
      - .offset:         52
        .size:           1
        .value_kind:     by_value
    .group_segment_fixed_size: 0
    .kernarg_segment_align: 8
    .kernarg_segment_size: 56
    .language:       OpenCL C
    .language_version:
      - 2
      - 0
    .max_flat_workgroup_size: 512
    .name:           _ZN9rocsparseL11roti_kernelILj512EldEEvT0_PT1_PKS1_S3_NS_24const_host_device_scalarIS2_EES7_21rocsparse_index_base_b
    .private_segment_fixed_size: 0
    .sgpr_count:     12
    .sgpr_spill_count: 0
    .symbol:         _ZN9rocsparseL11roti_kernelILj512EldEEvT0_PT1_PKS1_S3_NS_24const_host_device_scalarIS2_EES7_21rocsparse_index_base_b.kd
    .uniform_work_group_size: 1
    .uses_dynamic_stack: false
    .vgpr_count:     14
    .vgpr_spill_count: 0
    .wavefront_size: 32
  - .args:
      - .offset:         0
        .size:           8
        .value_kind:     by_value
      - .address_space:  global
        .offset:         8
        .size:           8
        .value_kind:     global_buffer
      - .actual_access:  read_only
        .address_space:  global
        .offset:         16
        .size:           8
        .value_kind:     global_buffer
      - .address_space:  global
        .offset:         24
        .size:           8
        .value_kind:     global_buffer
      - .offset:         32
        .size:           16
        .value_kind:     by_value
      - .offset:         48
        .size:           16
        .value_kind:     by_value
      - .offset:         64
        .size:           4
        .value_kind:     by_value
      - .offset:         68
        .size:           1
        .value_kind:     by_value
    .group_segment_fixed_size: 0
    .kernarg_segment_align: 8
    .kernarg_segment_size: 72
    .language:       OpenCL C
    .language_version:
      - 2
      - 0
    .max_flat_workgroup_size: 512
    .name:           _ZN9rocsparseL11roti_kernelILj512El21rocsparse_complex_numIdEEEvT0_PT1_PKS3_S5_NS_24const_host_device_scalarIS4_EES9_21rocsparse_index_base_b
    .private_segment_fixed_size: 0
    .sgpr_count:     14
    .sgpr_spill_count: 0
    .symbol:         _ZN9rocsparseL11roti_kernelILj512El21rocsparse_complex_numIdEEEvT0_PT1_PKS3_S5_NS_24const_host_device_scalarIS4_EES9_21rocsparse_index_base_b.kd
    .uniform_work_group_size: 1
    .uses_dynamic_stack: false
    .vgpr_count:     32
    .vgpr_spill_count: 0
    .wavefront_size: 32
amdhsa.target:   amdgcn-amd-amdhsa--gfx1250
amdhsa.version:
  - 1
  - 2
...

	.end_amdgpu_metadata
